;; amdgpu-corpus repo=ROCm/rocFFT kind=compiled arch=gfx1201 opt=O3
	.text
	.amdgcn_target "amdgcn-amd-amdhsa--gfx1201"
	.amdhsa_code_object_version 6
	.protected	fft_rtc_back_len3750_factors_3_5_5_10_5_wgs_125_tpt_125_halfLds_sp_ip_CI_unitstride_sbrr_R2C_dirReg ; -- Begin function fft_rtc_back_len3750_factors_3_5_5_10_5_wgs_125_tpt_125_halfLds_sp_ip_CI_unitstride_sbrr_R2C_dirReg
	.globl	fft_rtc_back_len3750_factors_3_5_5_10_5_wgs_125_tpt_125_halfLds_sp_ip_CI_unitstride_sbrr_R2C_dirReg
	.p2align	8
	.type	fft_rtc_back_len3750_factors_3_5_5_10_5_wgs_125_tpt_125_halfLds_sp_ip_CI_unitstride_sbrr_R2C_dirReg,@function
fft_rtc_back_len3750_factors_3_5_5_10_5_wgs_125_tpt_125_halfLds_sp_ip_CI_unitstride_sbrr_R2C_dirReg: ; @fft_rtc_back_len3750_factors_3_5_5_10_5_wgs_125_tpt_125_halfLds_sp_ip_CI_unitstride_sbrr_R2C_dirReg
; %bb.0:
	s_clause 0x2
	s_load_b128 s[4:7], s[0:1], 0x0
	s_load_b64 s[8:9], s[0:1], 0x50
	s_load_b64 s[10:11], s[0:1], 0x18
	v_mul_u32_u24_e32 v1, 0x20d, v0
	v_mov_b32_e32 v3, 0
	s_delay_alu instid0(VALU_DEP_2) | instskip(NEXT) | instid1(VALU_DEP_1)
	v_lshrrev_b32_e32 v1, 16, v1
	v_add_nc_u32_e32 v5, ttmp9, v1
	v_mov_b32_e32 v1, 0
	v_mov_b32_e32 v2, 0
	;; [unrolled: 1-line block ×3, first 2 shown]
	s_wait_kmcnt 0x0
	v_cmp_lt_u64_e64 s2, s[6:7], 2
	s_delay_alu instid0(VALU_DEP_1)
	s_and_b32 vcc_lo, exec_lo, s2
	s_cbranch_vccnz .LBB0_8
; %bb.1:
	s_load_b64 s[2:3], s[0:1], 0x10
	v_mov_b32_e32 v1, 0
	v_mov_b32_e32 v2, 0
	s_add_nc_u64 s[12:13], s[10:11], 8
	s_mov_b64 s[14:15], 1
	s_wait_kmcnt 0x0
	s_add_nc_u64 s[16:17], s[2:3], 8
	s_mov_b32 s3, 0
.LBB0_2:                                ; =>This Inner Loop Header: Depth=1
	s_load_b64 s[18:19], s[16:17], 0x0
                                        ; implicit-def: $vgpr7_vgpr8
	s_mov_b32 s2, exec_lo
	s_wait_kmcnt 0x0
	v_or_b32_e32 v4, s19, v6
	s_delay_alu instid0(VALU_DEP_1)
	v_cmpx_ne_u64_e32 0, v[3:4]
	s_wait_alu 0xfffe
	s_xor_b32 s20, exec_lo, s2
	s_cbranch_execz .LBB0_4
; %bb.3:                                ;   in Loop: Header=BB0_2 Depth=1
	s_cvt_f32_u32 s2, s18
	s_cvt_f32_u32 s21, s19
	s_sub_nc_u64 s[24:25], 0, s[18:19]
	s_wait_alu 0xfffe
	s_delay_alu instid0(SALU_CYCLE_1) | instskip(SKIP_1) | instid1(SALU_CYCLE_2)
	s_fmamk_f32 s2, s21, 0x4f800000, s2
	s_wait_alu 0xfffe
	v_s_rcp_f32 s2, s2
	s_delay_alu instid0(TRANS32_DEP_1) | instskip(SKIP_1) | instid1(SALU_CYCLE_2)
	s_mul_f32 s2, s2, 0x5f7ffffc
	s_wait_alu 0xfffe
	s_mul_f32 s21, s2, 0x2f800000
	s_wait_alu 0xfffe
	s_delay_alu instid0(SALU_CYCLE_2) | instskip(SKIP_1) | instid1(SALU_CYCLE_2)
	s_trunc_f32 s21, s21
	s_wait_alu 0xfffe
	s_fmamk_f32 s2, s21, 0xcf800000, s2
	s_cvt_u32_f32 s23, s21
	s_wait_alu 0xfffe
	s_delay_alu instid0(SALU_CYCLE_1) | instskip(SKIP_1) | instid1(SALU_CYCLE_2)
	s_cvt_u32_f32 s22, s2
	s_wait_alu 0xfffe
	s_mul_u64 s[26:27], s[24:25], s[22:23]
	s_wait_alu 0xfffe
	s_mul_hi_u32 s29, s22, s27
	s_mul_i32 s28, s22, s27
	s_mul_hi_u32 s2, s22, s26
	s_mul_i32 s30, s23, s26
	s_wait_alu 0xfffe
	s_add_nc_u64 s[28:29], s[2:3], s[28:29]
	s_mul_hi_u32 s21, s23, s26
	s_mul_hi_u32 s31, s23, s27
	s_add_co_u32 s2, s28, s30
	s_wait_alu 0xfffe
	s_add_co_ci_u32 s2, s29, s21
	s_mul_i32 s26, s23, s27
	s_add_co_ci_u32 s27, s31, 0
	s_wait_alu 0xfffe
	s_add_nc_u64 s[26:27], s[2:3], s[26:27]
	s_wait_alu 0xfffe
	v_add_co_u32 v4, s2, s22, s26
	s_delay_alu instid0(VALU_DEP_1) | instskip(SKIP_1) | instid1(VALU_DEP_1)
	s_cmp_lg_u32 s2, 0
	s_add_co_ci_u32 s23, s23, s27
	v_readfirstlane_b32 s22, v4
	s_wait_alu 0xfffe
	s_delay_alu instid0(VALU_DEP_1)
	s_mul_u64 s[24:25], s[24:25], s[22:23]
	s_wait_alu 0xfffe
	s_mul_hi_u32 s27, s22, s25
	s_mul_i32 s26, s22, s25
	s_mul_hi_u32 s2, s22, s24
	s_mul_i32 s28, s23, s24
	s_wait_alu 0xfffe
	s_add_nc_u64 s[26:27], s[2:3], s[26:27]
	s_mul_hi_u32 s21, s23, s24
	s_mul_hi_u32 s22, s23, s25
	s_wait_alu 0xfffe
	s_add_co_u32 s2, s26, s28
	s_add_co_ci_u32 s2, s27, s21
	s_mul_i32 s24, s23, s25
	s_add_co_ci_u32 s25, s22, 0
	s_wait_alu 0xfffe
	s_add_nc_u64 s[24:25], s[2:3], s[24:25]
	s_wait_alu 0xfffe
	v_add_co_u32 v4, s2, v4, s24
	s_delay_alu instid0(VALU_DEP_1) | instskip(SKIP_1) | instid1(VALU_DEP_1)
	s_cmp_lg_u32 s2, 0
	s_add_co_ci_u32 s2, s23, s25
	v_mul_hi_u32 v13, v5, v4
	s_wait_alu 0xfffe
	v_mad_co_u64_u32 v[7:8], null, v5, s2, 0
	v_mad_co_u64_u32 v[9:10], null, v6, v4, 0
	;; [unrolled: 1-line block ×3, first 2 shown]
	s_delay_alu instid0(VALU_DEP_3) | instskip(SKIP_1) | instid1(VALU_DEP_4)
	v_add_co_u32 v4, vcc_lo, v13, v7
	s_wait_alu 0xfffd
	v_add_co_ci_u32_e32 v7, vcc_lo, 0, v8, vcc_lo
	s_delay_alu instid0(VALU_DEP_2) | instskip(SKIP_1) | instid1(VALU_DEP_2)
	v_add_co_u32 v4, vcc_lo, v4, v9
	s_wait_alu 0xfffd
	v_add_co_ci_u32_e32 v4, vcc_lo, v7, v10, vcc_lo
	s_wait_alu 0xfffd
	v_add_co_ci_u32_e32 v7, vcc_lo, 0, v12, vcc_lo
	s_delay_alu instid0(VALU_DEP_2) | instskip(SKIP_1) | instid1(VALU_DEP_2)
	v_add_co_u32 v4, vcc_lo, v4, v11
	s_wait_alu 0xfffd
	v_add_co_ci_u32_e32 v9, vcc_lo, 0, v7, vcc_lo
	s_delay_alu instid0(VALU_DEP_2) | instskip(SKIP_1) | instid1(VALU_DEP_3)
	v_mul_lo_u32 v10, s19, v4
	v_mad_co_u64_u32 v[7:8], null, s18, v4, 0
	v_mul_lo_u32 v11, s18, v9
	s_delay_alu instid0(VALU_DEP_2) | instskip(NEXT) | instid1(VALU_DEP_2)
	v_sub_co_u32 v7, vcc_lo, v5, v7
	v_add3_u32 v8, v8, v11, v10
	s_delay_alu instid0(VALU_DEP_1) | instskip(SKIP_1) | instid1(VALU_DEP_1)
	v_sub_nc_u32_e32 v10, v6, v8
	s_wait_alu 0xfffd
	v_subrev_co_ci_u32_e64 v10, s2, s19, v10, vcc_lo
	v_add_co_u32 v11, s2, v4, 2
	s_wait_alu 0xf1ff
	v_add_co_ci_u32_e64 v12, s2, 0, v9, s2
	v_sub_co_u32 v13, s2, v7, s18
	v_sub_co_ci_u32_e32 v8, vcc_lo, v6, v8, vcc_lo
	s_wait_alu 0xf1ff
	v_subrev_co_ci_u32_e64 v10, s2, 0, v10, s2
	s_delay_alu instid0(VALU_DEP_3) | instskip(NEXT) | instid1(VALU_DEP_3)
	v_cmp_le_u32_e32 vcc_lo, s18, v13
	v_cmp_eq_u32_e64 s2, s19, v8
	s_wait_alu 0xfffd
	v_cndmask_b32_e64 v13, 0, -1, vcc_lo
	v_cmp_le_u32_e32 vcc_lo, s19, v10
	s_wait_alu 0xfffd
	v_cndmask_b32_e64 v14, 0, -1, vcc_lo
	v_cmp_le_u32_e32 vcc_lo, s18, v7
	;; [unrolled: 3-line block ×3, first 2 shown]
	s_wait_alu 0xfffd
	v_cndmask_b32_e64 v15, 0, -1, vcc_lo
	v_cmp_eq_u32_e32 vcc_lo, s19, v10
	s_wait_alu 0xf1ff
	s_delay_alu instid0(VALU_DEP_2)
	v_cndmask_b32_e64 v7, v15, v7, s2
	s_wait_alu 0xfffd
	v_cndmask_b32_e32 v10, v14, v13, vcc_lo
	v_add_co_u32 v13, vcc_lo, v4, 1
	s_wait_alu 0xfffd
	v_add_co_ci_u32_e32 v14, vcc_lo, 0, v9, vcc_lo
	s_delay_alu instid0(VALU_DEP_3) | instskip(SKIP_2) | instid1(VALU_DEP_3)
	v_cmp_ne_u32_e32 vcc_lo, 0, v10
	s_wait_alu 0xfffd
	v_cndmask_b32_e32 v10, v13, v11, vcc_lo
	v_cndmask_b32_e32 v8, v14, v12, vcc_lo
	v_cmp_ne_u32_e32 vcc_lo, 0, v7
	s_wait_alu 0xfffd
	s_delay_alu instid0(VALU_DEP_2)
	v_dual_cndmask_b32 v7, v4, v10 :: v_dual_cndmask_b32 v8, v9, v8
.LBB0_4:                                ;   in Loop: Header=BB0_2 Depth=1
	s_wait_alu 0xfffe
	s_and_not1_saveexec_b32 s2, s20
	s_cbranch_execz .LBB0_6
; %bb.5:                                ;   in Loop: Header=BB0_2 Depth=1
	v_cvt_f32_u32_e32 v4, s18
	s_sub_co_i32 s20, 0, s18
	s_delay_alu instid0(VALU_DEP_1) | instskip(NEXT) | instid1(TRANS32_DEP_1)
	v_rcp_iflag_f32_e32 v4, v4
	v_mul_f32_e32 v4, 0x4f7ffffe, v4
	s_delay_alu instid0(VALU_DEP_1) | instskip(SKIP_1) | instid1(VALU_DEP_1)
	v_cvt_u32_f32_e32 v4, v4
	s_wait_alu 0xfffe
	v_mul_lo_u32 v7, s20, v4
	s_delay_alu instid0(VALU_DEP_1) | instskip(NEXT) | instid1(VALU_DEP_1)
	v_mul_hi_u32 v7, v4, v7
	v_add_nc_u32_e32 v4, v4, v7
	s_delay_alu instid0(VALU_DEP_1) | instskip(NEXT) | instid1(VALU_DEP_1)
	v_mul_hi_u32 v4, v5, v4
	v_mul_lo_u32 v7, v4, s18
	v_add_nc_u32_e32 v8, 1, v4
	s_delay_alu instid0(VALU_DEP_2) | instskip(NEXT) | instid1(VALU_DEP_1)
	v_sub_nc_u32_e32 v7, v5, v7
	v_subrev_nc_u32_e32 v9, s18, v7
	v_cmp_le_u32_e32 vcc_lo, s18, v7
	s_wait_alu 0xfffd
	s_delay_alu instid0(VALU_DEP_2) | instskip(NEXT) | instid1(VALU_DEP_1)
	v_dual_cndmask_b32 v7, v7, v9 :: v_dual_cndmask_b32 v4, v4, v8
	v_cmp_le_u32_e32 vcc_lo, s18, v7
	s_delay_alu instid0(VALU_DEP_2) | instskip(SKIP_1) | instid1(VALU_DEP_1)
	v_add_nc_u32_e32 v8, 1, v4
	s_wait_alu 0xfffd
	v_dual_cndmask_b32 v7, v4, v8 :: v_dual_mov_b32 v8, v3
.LBB0_6:                                ;   in Loop: Header=BB0_2 Depth=1
	s_wait_alu 0xfffe
	s_or_b32 exec_lo, exec_lo, s2
	s_load_b64 s[20:21], s[12:13], 0x0
	s_delay_alu instid0(VALU_DEP_1)
	v_mul_lo_u32 v4, v8, s18
	v_mul_lo_u32 v11, v7, s19
	v_mad_co_u64_u32 v[9:10], null, v7, s18, 0
	s_add_nc_u64 s[14:15], s[14:15], 1
	s_add_nc_u64 s[12:13], s[12:13], 8
	s_wait_alu 0xfffe
	v_cmp_ge_u64_e64 s2, s[14:15], s[6:7]
	s_add_nc_u64 s[16:17], s[16:17], 8
	s_delay_alu instid0(VALU_DEP_2) | instskip(NEXT) | instid1(VALU_DEP_3)
	v_add3_u32 v4, v10, v11, v4
	v_sub_co_u32 v5, vcc_lo, v5, v9
	s_wait_alu 0xfffd
	s_delay_alu instid0(VALU_DEP_2) | instskip(SKIP_3) | instid1(VALU_DEP_2)
	v_sub_co_ci_u32_e32 v4, vcc_lo, v6, v4, vcc_lo
	s_and_b32 vcc_lo, exec_lo, s2
	s_wait_kmcnt 0x0
	v_mul_lo_u32 v6, s21, v5
	v_mul_lo_u32 v4, s20, v4
	v_mad_co_u64_u32 v[1:2], null, s20, v5, v[1:2]
	s_delay_alu instid0(VALU_DEP_1)
	v_add3_u32 v2, v6, v2, v4
	s_wait_alu 0xfffe
	s_cbranch_vccnz .LBB0_9
; %bb.7:                                ;   in Loop: Header=BB0_2 Depth=1
	v_dual_mov_b32 v5, v7 :: v_dual_mov_b32 v6, v8
	s_branch .LBB0_2
.LBB0_8:
	v_dual_mov_b32 v8, v6 :: v_dual_mov_b32 v7, v5
.LBB0_9:
	s_lshl_b64 s[2:3], s[6:7], 3
	v_mul_hi_u32 v3, 0x20c49bb, v0
	s_wait_alu 0xfffe
	s_add_nc_u64 s[2:3], s[10:11], s[2:3]
	s_load_b64 s[0:1], s[0:1], 0x20
	s_load_b64 s[2:3], s[2:3], 0x0
	s_delay_alu instid0(VALU_DEP_1) | instskip(NEXT) | instid1(VALU_DEP_1)
	v_mul_u32_u24_e32 v3, 0x7d, v3
	v_sub_nc_u32_e32 v52, v0, v3
	s_delay_alu instid0(VALU_DEP_1)
	v_add_nc_u32_e32 v56, 0x7d, v52
	v_add_nc_u32_e32 v63, 0xfa, v52
	;; [unrolled: 1-line block ×4, first 2 shown]
	s_wait_kmcnt 0x0
	v_cmp_gt_u64_e32 vcc_lo, s[0:1], v[7:8]
	v_mul_lo_u32 v3, s2, v8
	v_mul_lo_u32 v4, s3, v7
	v_mad_co_u64_u32 v[0:1], null, s2, v7, v[1:2]
	v_cmp_le_u64_e64 s0, s[0:1], v[7:8]
	v_add_nc_u32_e32 v60, 0x271, v52
	v_add_nc_u32_e32 v59, 0x2ee, v52
	;; [unrolled: 1-line block ×3, first 2 shown]
	v_add3_u32 v1, v4, v1, v3
	s_and_saveexec_b32 s1, s0
	s_wait_alu 0xfffe
	s_xor_b32 s0, exec_lo, s1
; %bb.10:
	v_add_nc_u32_e32 v56, 0x7d, v52
	v_add_nc_u32_e32 v63, 0xfa, v52
	;; [unrolled: 1-line block ×7, first 2 shown]
; %bb.11:
	s_wait_alu 0xfffe
	s_or_saveexec_b32 s1, s0
	v_lshlrev_b64_e32 v[54:55], 3, v[0:1]
	s_wait_alu 0xfffe
	s_xor_b32 exec_lo, exec_lo, s1
	s_cbranch_execz .LBB0_13
; %bb.12:
	v_mov_b32_e32 v53, 0
	s_delay_alu instid0(VALU_DEP_2) | instskip(SKIP_2) | instid1(VALU_DEP_3)
	v_add_co_u32 v2, s0, s8, v54
	s_wait_alu 0xf1ff
	v_add_co_ci_u32_e64 v3, s0, s9, v55, s0
	v_lshlrev_b64_e32 v[0:1], 3, v[52:53]
	v_lshl_add_u32 v53, v52, 3, 0
	s_delay_alu instid0(VALU_DEP_1) | instskip(NEXT) | instid1(VALU_DEP_3)
	v_add_nc_u32_e32 v57, 0x400, v53
	v_add_co_u32 v0, s0, v2, v0
	s_wait_alu 0xf1ff
	s_delay_alu instid0(VALU_DEP_4)
	v_add_co_ci_u32_e64 v1, s0, v3, v1, s0
	v_add_nc_u32_e32 v72, 0xc00, v53
	v_add_nc_u32_e32 v73, 0x1400, v53
	s_clause 0x1d
	global_load_b64 v[2:3], v[0:1], off
	global_load_b64 v[4:5], v[0:1], off offset:1000
	global_load_b64 v[6:7], v[0:1], off offset:2000
	;; [unrolled: 1-line block ×29, first 2 shown]
	v_add_nc_u32_e32 v74, 0x1c00, v53
	v_add_nc_u32_e32 v75, 0x2400, v53
	;; [unrolled: 1-line block ×11, first 2 shown]
	s_wait_loadcnt 0x1c
	ds_store_2addr_b64 v53, v[2:3], v[4:5] offset1:125
	s_wait_loadcnt 0x1a
	ds_store_2addr_b64 v57, v[6:7], v[8:9] offset0:122 offset1:247
	s_wait_loadcnt 0x18
	ds_store_2addr_b64 v72, v[10:11], v[12:13] offset0:116 offset1:241
	;; [unrolled: 2-line block ×14, first 2 shown]
.LBB0_13:
	s_or_b32 exec_lo, exec_lo, s1
	v_lshlrev_b32_e32 v53, 3, v52
	global_wb scope:SCOPE_SE
	s_wait_dscnt 0x0
	s_barrier_signal -1
	s_barrier_wait -1
	global_inv scope:SCOPE_SE
	v_add_nc_u32_e32 v78, 0, v53
	v_cmp_gt_u32_e64 s0, 0x4b, v52
	s_mov_b32 s1, exec_lo
	s_delay_alu instid0(VALU_DEP_2)
	v_add_nc_u32_e32 v93, 0x2400, v78
	v_add_nc_u32_e32 v89, 0x4c00, v78
	ds_load_2addr_b64 v[12:15], v78 offset1:125
	ds_load_2addr_b64 v[16:19], v93 offset0:98 offset1:223
	ds_load_2addr_b64 v[20:23], v89 offset0:68 offset1:193
	s_wait_dscnt 0x1
	v_add_f32_e32 v44, v12, v16
	s_wait_dscnt 0x0
	v_sub_f32_e32 v66, v16, v20
	v_dual_add_f32 v57, v16, v20 :: v_dual_add_nc_u32 v0, 0x400, v78
	v_dual_add_f32 v45, v13, v17 :: v_dual_add_nc_u32 v108, 0x2c00, v78
	;; [unrolled: 1-line block ×3, first 2 shown]
	v_dual_sub_f32 v64, v17, v21 :: v_dual_add_f32 v17, v15, v19
	s_delay_alu instid0(VALU_DEP_3) | instskip(SKIP_2) | instid1(VALU_DEP_4)
	v_dual_add_f32 v45, v45, v21 :: v_dual_add_nc_u32 v72, 0xc00, v78
	v_dual_sub_f32 v68, v19, v23 :: v_dual_add_nc_u32 v95, 0x3400, v78
	v_dual_add_f32 v44, v44, v20 :: v_dual_add_nc_u32 v1, 0x1400, v78
	v_dual_add_f32 v47, v17, v23 :: v_dual_add_nc_u32 v92, 0x5c00, v78
	v_dual_add_f32 v69, v19, v23 :: v_dual_add_nc_u32 v94, 0x3c00, v78
	ds_load_2addr_b64 v[8:11], v0 offset0:122 offset1:247
	ds_load_2addr_b64 v[24:27], v108 offset0:92 offset1:217
	;; [unrolled: 1-line block ×8, first 2 shown]
	v_add_f32_e32 v16, v14, v18
	v_add_nc_u32_e32 v91, 0x6400, v78
	v_sub_f32_e32 v70, v18, v22
	v_fma_f32 v12, -0.5, v57, v12
	v_fma_f32 v13, -0.5, v65, v13
	v_mad_u32_u24 v57, v52, 24, 0
	v_mad_i32_i24 v65, v63, 24, 0
	v_fmac_f32_e32 v15, -0.5, v69
	s_wait_dscnt 0x6
	v_add_f32_e32 v17, v9, v25
	s_wait_dscnt 0x5
	v_add_f32_e32 v71, v24, v28
	v_dual_add_f32 v46, v16, v22 :: v_dual_sub_f32 v73, v25, v29
	v_dual_add_f32 v16, v8, v24 :: v_dual_add_f32 v67, v18, v22
	v_add_f32_e32 v49, v17, v29
	v_dual_add_f32 v74, v25, v29 :: v_dual_add_f32 v17, v11, v27
	s_delay_alu instid0(VALU_DEP_3) | instskip(SKIP_2) | instid1(VALU_DEP_3)
	v_add_f32_e32 v48, v16, v28
	v_dual_add_f32 v16, v10, v26 :: v_dual_add_f32 v79, v27, v31
	s_wait_dscnt 0x3
	v_dual_add_f32 v20, v4, v32 :: v_dual_add_f32 v51, v17, v31
	v_sub_f32_e32 v80, v26, v30
	s_delay_alu instid0(VALU_DEP_3)
	v_dual_add_f32 v50, v16, v30 :: v_dual_sub_f32 v77, v27, v31
	ds_load_2addr_b64 v[16:19], v91 offset0:50 offset1:175
	s_wait_dscnt 0x3
	v_dual_add_f32 v21, v5, v33 :: v_dual_sub_f32 v84, v32, v36
	v_dual_sub_f32 v87, v35, v39 :: v_dual_add_nc_u32 v22, 0x1c00, v78
	v_add_nc_u32_e32 v103, 0x4400, v78
	v_dual_sub_f32 v75, v24, v28 :: v_dual_add_nc_u32 v98, 0x6c00, v78
	v_dual_add_f32 v76, v26, v30 :: v_dual_add_f32 v81, v32, v36
	v_sub_f32_e32 v82, v33, v37
	v_dual_add_f32 v83, v33, v37 :: v_dual_add_f32 v86, v34, v38
	v_dual_add_f32 v32, v20, v36 :: v_dual_add_f32 v33, v21, v37
	ds_load_2addr_b64 v[20:23], v22 offset0:104 offset1:229
	ds_load_2addr_b64 v[24:27], v103 offset0:74 offset1:199
	;; [unrolled: 1-line block ×3, first 2 shown]
	v_dual_add_f32 v85, v6, v34 :: v_dual_add_f32 v88, v7, v35
	v_dual_add_f32 v96, v35, v39 :: v_dual_sub_f32 v97, v34, v38
	s_wait_dscnt 0x4
	v_add_f32_e32 v36, v0, v40
	s_delay_alu instid0(VALU_DEP_3)
	v_dual_add_f32 v34, v85, v38 :: v_dual_add_f32 v35, v88, v39
	s_wait_dscnt 0x3
	v_dual_add_f32 v39, v40, v16 :: v_dual_add_f32 v38, v2, v42
	v_dual_add_f32 v37, v1, v41 :: v_dual_sub_f32 v88, v40, v16
	v_dual_add_f32 v100, v3, v43 :: v_dual_sub_f32 v101, v42, v18
	v_sub_f32_e32 v85, v41, v17
	v_dual_add_f32 v41, v41, v17 :: v_dual_add_f32 v40, v42, v18
	v_dual_sub_f32 v99, v43, v19 :: v_dual_add_f32 v16, v36, v16
	v_dual_add_f32 v43, v43, v19 :: v_dual_add_f32 v18, v38, v18
	s_wait_dscnt 0x1
	v_dual_add_f32 v17, v37, v17 :: v_dual_add_f32 v36, v20, v24
	s_wait_dscnt 0x0
	v_dual_add_f32 v19, v100, v19 :: v_dual_sub_f32 v102, v25, v29
	v_dual_add_f32 v100, v24, v28 :: v_dual_add_f32 v37, v21, v25
	v_dual_add_f32 v38, v22, v26 :: v_dual_sub_f32 v107, v27, v31
	v_add_f32_e32 v42, v23, v27
	v_sub_f32_e32 v110, v26, v30
	v_fma_f32 v14, -0.5, v67, v14
	v_dual_add_f32 v104, v25, v29 :: v_dual_sub_f32 v105, v24, v28
	v_dual_add_f32 v106, v26, v30 :: v_dual_add_f32 v109, v27, v31
	v_dual_add_f32 v25, v37, v29 :: v_dual_add_f32 v24, v36, v28
	v_add_f32_e32 v27, v42, v31
	v_dual_add_f32 v26, v38, v30 :: v_dual_fmac_f32 v11, -0.5, v79
	v_fmamk_f32 v28, v64, 0xbf5db3d7, v12
	v_dual_fmac_f32 v12, 0x3f5db3d7, v64 :: v_dual_fmamk_f32 v29, v66, 0x3f5db3d7, v13
	v_fmamk_f32 v30, v68, 0xbf5db3d7, v14
	v_dual_fmamk_f32 v31, v70, 0x3f5db3d7, v15 :: v_dual_fmac_f32 v14, 0x3f5db3d7, v68
	v_mad_i32_i24 v64, v56, 24, 0
	v_fma_f32 v8, -0.5, v71, v8
	v_fma_f32 v9, -0.5, v74, v9
	;; [unrolled: 1-line block ×3, first 2 shown]
	v_fmac_f32_e32 v13, 0xbf5db3d7, v66
	v_fmac_f32_e32 v15, 0xbf5db3d7, v70
	global_wb scope:SCOPE_SE
	s_barrier_signal -1
	s_barrier_wait -1
	global_inv scope:SCOPE_SE
	ds_store_2addr_b64 v57, v[44:45], v[28:29] offset1:1
	ds_store_b64 v57, v[12:13] offset:16
	v_fmamk_f32 v12, v73, 0xbf5db3d7, v8
	v_dual_fmac_f32 v8, 0x3f5db3d7, v73 :: v_dual_fmamk_f32 v13, v75, 0x3f5db3d7, v9
	v_fmamk_f32 v28, v77, 0xbf5db3d7, v10
	v_dual_fmac_f32 v10, 0x3f5db3d7, v77 :: v_dual_fmamk_f32 v29, v80, 0x3f5db3d7, v11
	ds_store_2addr_b64 v64, v[46:47], v[30:31] offset1:1
	ds_store_b64 v64, v[14:15] offset:16
	v_mad_i32_i24 v14, v62, 24, 0
	v_and_b32_e32 v68, 0xffff, v62
	v_fmac_f32_e32 v9, 0xbf5db3d7, v75
	v_fmac_f32_e32 v11, 0xbf5db3d7, v80
	ds_store_2addr_b64 v65, v[48:49], v[12:13] offset1:1
	ds_store_b64 v65, v[8:9] offset:16
	ds_store_2addr_b64 v14, v[50:51], v[28:29] offset1:1
	ds_store_b64 v14, v[10:11] offset:16
	v_mul_u32_u24_e32 v10, 0xaaab, v68
	v_and_b32_e32 v64, 0xff, v56
	v_fma_f32 v4, -0.5, v81, v4
	v_fma_f32 v5, -0.5, v83, v5
	;; [unrolled: 1-line block ×3, first 2 shown]
	v_lshrrev_b32_e32 v73, 17, v10
	v_fmac_f32_e32 v23, -0.5, v109
	v_mul_lo_u16 v9, 0xab, v64
	v_fma_f32 v6, -0.5, v86, v6
	v_fmamk_f32 v66, v107, 0xbf5db3d7, v22
	v_mul_lo_u16 v10, v73, 3
	v_dual_fmamk_f32 v36, v82, 0xbf5db3d7, v4 :: v_dual_fmac_f32 v7, -0.5, v96
	v_fma_f32 v0, -0.5, v39, v0
	v_dual_fmac_f32 v4, 0x3f5db3d7, v82 :: v_dual_fmamk_f32 v37, v84, 0x3f5db3d7, v5
	s_delay_alu instid0(VALU_DEP_4)
	v_sub_nc_u16 v10, v62, v10
	v_fma_f32 v1, -0.5, v41, v1
	v_mad_i32_i24 v8, v61, 24, 0
	v_and_b32_e32 v65, 0xffff, v63
	v_dual_fmac_f32 v5, 0xbf5db3d7, v84 :: v_dual_fmamk_f32 v38, v87, 0xbf5db3d7, v6
	v_and_b32_e32 v74, 0xffff, v10
	v_fmamk_f32 v67, v110, 0x3f5db3d7, v23
	v_fmac_f32_e32 v23, 0xbf5db3d7, v110
	v_lshrrev_b16 v110, 9, v9
	v_dual_fmac_f32 v6, 0x3f5db3d7, v87 :: v_dual_fmamk_f32 v39, v97, 0x3f5db3d7, v7
	v_fmac_f32_e32 v7, 0xbf5db3d7, v97
	v_fma_f32 v2, -0.5, v40, v2
	v_fmamk_f32 v40, v85, 0xbf5db3d7, v0
	v_dual_fmac_f32 v0, 0x3f5db3d7, v85 :: v_dual_fmac_f32 v3, -0.5, v43
	v_mad_i32_i24 v80, v60, 24, 0
	v_fma_f32 v20, -0.5, v100, v20
	v_fma_f32 v21, -0.5, v104, v21
	v_fmamk_f32 v41, v88, 0x3f5db3d7, v1
	ds_store_2addr_b64 v8, v[32:33], v[36:37] offset1:1
	ds_store_b64 v8, v[4:5] offset:16
	ds_store_2addr_b64 v80, v[34:35], v[38:39] offset1:1
	ds_store_b64 v80, v[6:7] offset:16
	v_mul_u32_u24_e32 v4, 0xaaab, v65
	v_mad_i32_i24 v79, v59, 24, 0
	v_mul_lo_u16 v7, v110, 3
	v_dual_fmac_f32 v1, 0xbf5db3d7, v88 :: v_dual_fmamk_f32 v42, v99, 0xbf5db3d7, v2
	v_fmamk_f32 v43, v101, 0x3f5db3d7, v3
	v_add_nc_u32_e32 v5, 0x5208, v57
	v_dual_fmac_f32 v3, 0xbf5db3d7, v101 :: v_dual_fmamk_f32 v44, v102, 0xbf5db3d7, v20
	v_dual_fmamk_f32 v45, v105, 0x3f5db3d7, v21 :: v_dual_fmac_f32 v22, 0x3f5db3d7, v107
	v_add_nc_u32_e32 v6, 0x5dc0, v57
	v_fmac_f32_e32 v2, 0x3f5db3d7, v99
	v_fmac_f32_e32 v20, 0x3f5db3d7, v102
	v_lshrrev_b32_e32 v77, 17, v4
	ds_store_2addr_b64 v79, v[16:17], v[40:41] offset1:1
	ds_store_b64 v79, v[0:1] offset:16
	ds_store_2addr_b64 v5, v[18:19], v[42:43] offset1:1
	ds_store_2addr_b64 v6, v[24:25], v[44:45] offset1:1
	v_sub_nc_u16 v1, v56, v7
	v_mad_i32_i24 v4, v58, 24, 0
	v_lshlrev_b32_e32 v24, 5, v74
	v_mul_lo_u16 v0, v77, 3
	v_lshl_add_u32 v82, v56, 3, 0
	v_and_b32_e32 v111, 0xff, v1
	v_fmac_f32_e32 v21, 0xbf5db3d7, v105
	v_lshl_add_u32 v81, v61, 3, 0
	v_sub_nc_u16 v0, v63, v0
	v_lshl_add_u32 v83, v63, 3, 0
	v_lshlrev_b32_e32 v8, 5, v111
	ds_store_b64 v57, v[2:3] offset:21016
	ds_store_b64 v57, v[20:21] offset:24016
	ds_store_2addr_b64 v4, v[26:27], v[66:67] offset1:1
	ds_store_b64 v4, v[22:23] offset:16
	global_wb scope:SCOPE_SE
	s_wait_dscnt 0x0
	v_and_b32_e32 v109, 0xffff, v0
	s_barrier_signal -1
	s_barrier_wait -1
	global_inv scope:SCOPE_SE
	s_clause 0x1
	global_load_b128 v[0:3], v8, s[4:5]
	global_load_b128 v[16:19], v8, s[4:5] offset:16
	v_and_b32_e32 v66, 0xffff, v61
	v_lshlrev_b32_e32 v9, 5, v109
	v_and_b32_e32 v67, 0xff, v52
	v_add_nc_u32_e32 v88, 0x3000, v78
	v_add_nc_u32_e32 v106, 0x6000, v78
	v_mul_u32_u24_e32 v11, 0xaaab, v66
	s_clause 0x1
	global_load_b128 v[4:7], v9, s[4:5]
	global_load_b128 v[12:15], v9, s[4:5] offset:16
	v_and_b32_e32 v69, 0xffff, v60
	v_mul_lo_u16 v25, 0xab, v67
	v_lshrrev_b32_e32 v71, 17, v11
	s_delay_alu instid0(VALU_DEP_3) | instskip(NEXT) | instid1(VALU_DEP_3)
	v_mul_u32_u24_e32 v29, 0xaaab, v69
	v_lshrrev_b16 v84, 9, v25
	s_delay_alu instid0(VALU_DEP_3) | instskip(NEXT) | instid1(VALU_DEP_3)
	v_mul_lo_u16 v8, v71, 3
	v_lshrrev_b32_e32 v76, 17, v29
	s_delay_alu instid0(VALU_DEP_3) | instskip(NEXT) | instid1(VALU_DEP_3)
	v_mul_lo_u16 v29, v84, 3
	v_sub_nc_u16 v8, v61, v8
	s_delay_alu instid0(VALU_DEP_2) | instskip(NEXT) | instid1(VALU_DEP_2)
	v_sub_nc_u16 v29, v52, v29
	v_and_b32_e32 v70, 0xffff, v8
	global_load_b128 v[8:11], v24, s[4:5]
	v_and_b32_e32 v112, 0xff, v29
	v_lshlrev_b32_e32 v28, 5, v70
	s_delay_alu instid0(VALU_DEP_2)
	v_lshlrev_b32_e32 v40, 5, v112
	s_clause 0x2
	global_load_b128 v[20:23], v28, s[4:5]
	global_load_b128 v[24:27], v24, s[4:5] offset:16
	global_load_b128 v[36:39], v28, s[4:5] offset:16
	v_mul_lo_u16 v28, v76, 3
	v_add_nc_u32_e32 v87, 0x1800, v78
	v_add_nc_u32_e32 v107, 0x4800, v78
	;; [unrolled: 1-line block ×3, first 2 shown]
	s_delay_alu instid0(VALU_DEP_4) | instskip(NEXT) | instid1(VALU_DEP_1)
	v_sub_nc_u16 v28, v60, v28
	v_and_b32_e32 v75, 0xffff, v28
	s_delay_alu instid0(VALU_DEP_1)
	v_lshlrev_b32_e32 v44, 5, v75
	s_clause 0x3
	global_load_b128 v[32:35], v40, s[4:5]
	global_load_b128 v[28:31], v44, s[4:5]
	global_load_b128 v[40:43], v40, s[4:5] offset:16
	global_load_b128 v[44:47], v44, s[4:5] offset:16
	ds_load_2addr_b64 v[48:51], v87 offset0:107 offset1:232
	ds_load_2addr_b64 v[113:116], v88 offset0:89 offset1:214
	;; [unrolled: 1-line block ×5, first 2 shown]
	v_add_nc_u32_e32 v104, 0x3800, v78
	v_add_nc_u32_e32 v102, 0x5000, v78
	;; [unrolled: 1-line block ×3, first 2 shown]
	v_lshlrev_b32_e32 v57, 4, v59
	v_lshlrev_b32_e32 v85, 4, v60
	s_wait_loadcnt_dscnt 0xb04
	v_mul_f32_e32 v129, v49, v1
	s_wait_dscnt 0x3
	v_dual_mul_f32 v1, v48, v1 :: v_dual_mul_f32 v130, v114, v3
	v_mul_f32_e32 v3, v113, v3
	s_wait_loadcnt_dscnt 0xa01
	v_mul_f32_e32 v138, v122, v19
	v_mul_f32_e32 v19, v121, v19
	v_fmac_f32_e32 v129, v48, v0
	v_fma_f32 v132, v49, v0, -v1
	v_fmac_f32_e32 v130, v113, v2
	v_fma_f32 v133, v114, v2, -v3
	s_wait_loadcnt 0x8
	v_mul_f32_e32 v139, v120, v13
	ds_load_2addr_b64 v[0:3], v104 offset0:83 offset1:208
	v_dual_mul_f32 v13, v119, v13 :: v_dual_fmac_f32 v138, v121, v18
	v_fma_f32 v121, v122, v18, -v19
	v_mul_f32_e32 v122, v124, v15
	v_mul_f32_e32 v15, v123, v15
	;; [unrolled: 1-line block ×3, first 2 shown]
	v_dual_mul_f32 v5, v50, v5 :: v_dual_mul_f32 v134, v116, v7
	v_mul_f32_e32 v7, v115, v7
	v_fmac_f32_e32 v139, v119, v12
	v_fma_f32 v119, v120, v12, -v13
	v_fmac_f32_e32 v122, v123, v14
	v_fma_f32 v120, v124, v14, -v15
	v_fmac_f32_e32 v131, v50, v4
	v_fma_f32 v135, v51, v4, -v5
	v_fmac_f32_e32 v134, v115, v6
	v_fma_f32 v136, v116, v6, -v7
	ds_load_2addr_b64 v[4:7], v102 offset0:65 offset1:190
	v_mul_f32_e32 v137, v118, v17
	v_mul_f32_e32 v17, v117, v17
	s_wait_loadcnt_dscnt 0x701
	v_mul_f32_e32 v124, v1, v11
	v_add_nc_u32_e32 v100, 0x2800, v78
	v_add_nc_u32_e32 v97, 0x4000, v78
	v_fmac_f32_e32 v137, v117, v16
	v_fma_f32 v140, v118, v16, -v17
	s_wait_loadcnt 0x6
	v_dual_mul_f32 v14, v128, v21 :: v_dual_add_nc_u32 v101, 0x6800, v78
	v_sub_nc_u32_e32 v99, v79, v57
	v_dual_mul_f32 v11, v0, v11 :: v_dual_mul_f32 v12, v127, v21
	s_delay_alu instid0(VALU_DEP_3)
	v_fmac_f32_e32 v14, v127, v20
	ds_load_2addr_b64 v[48:51], v101 offset0:47 offset1:172
	v_dual_mul_f32 v123, v126, v9 :: v_dual_fmac_f32 v124, v0, v10
	v_dual_mul_f32 v16, v3, v23 :: v_dual_mul_f32 v9, v125, v9
	v_mul_f32_e32 v0, v2, v23
	ds_load_2addr_b64 v[113:116], v100 offset0:95 offset1:220
	v_fma_f32 v15, v128, v20, -v12
	v_fmac_f32_e32 v16, v2, v22
	ds_load_b64 v[117:118], v99
	v_fma_f32 v17, v3, v22, -v0
	s_wait_loadcnt_dscnt 0x503
	v_mul_f32_e32 v0, v4, v25
	s_wait_loadcnt 0x4
	v_mul_f32_e32 v18, v7, v37
	v_mul_f32_e32 v2, v6, v37
	v_sub_nc_u32_e32 v86, v80, v85
	v_fma_f32 v37, v5, v24, -v0
	s_delay_alu instid0(VALU_DEP_4) | instskip(NEXT) | instid1(VALU_DEP_4)
	v_fmac_f32_e32 v18, v6, v36
	v_fma_f32 v19, v7, v36, -v2
	s_wait_dscnt 0x2
	v_mul_f32_e32 v128, v49, v27
	v_fmac_f32_e32 v123, v125, v8
	v_fma_f32 v125, v126, v8, -v9
	v_fma_f32 v126, v1, v10, -v11
	ds_load_2addr_b64 v[9:12], v97 offset0:77 offset1:202
	v_dual_mul_f32 v127, v5, v25 :: v_dual_fmac_f32 v128, v48, v26
	v_mul_f32_e32 v20, v51, v39
	v_mul_f32_e32 v1, v48, v27
	s_wait_loadcnt_dscnt 0x302
	v_mul_f32_e32 v5, v115, v35
	v_fmac_f32_e32 v127, v4, v24
	ds_load_2addr_b64 v[22:25], v96 offset0:59 offset1:184
	s_wait_loadcnt 0x2
	v_dual_mul_f32 v4, v50, v39 :: v_dual_mul_f32 v7, v113, v29
	v_fmac_f32_e32 v20, v50, v38
	s_wait_dscnt 0x2
	v_mul_f32_e32 v36, v33, v118
	v_mul_f32_e32 v6, v114, v29
	v_fma_f32 v21, v51, v38, -v4
	v_mul_f32_e32 v38, v116, v35
	v_fma_f32 v39, v116, v34, -v5
	v_fma_f32 v48, v49, v26, -v1
	ds_load_b64 v[0:1], v86
	ds_load_b64 v[2:3], v81
	;; [unrolled: 1-line block ×3, first 2 shown]
	v_fma_f32 v7, v114, v28, -v7
	s_wait_dscnt 0x4
	v_mul_f32_e32 v8, v10, v31
	v_mul_f32_e32 v13, v9, v31
	s_delay_alu instid0(VALU_DEP_2) | instskip(NEXT) | instid1(VALU_DEP_2)
	v_fmac_f32_e32 v8, v9, v30
	v_fma_f32 v9, v10, v30, -v13
	s_wait_loadcnt_dscnt 0x103
	v_dual_mul_f32 v10, v11, v41 :: v_dual_mul_f32 v13, v24, v43
	v_fmac_f32_e32 v36, v32, v117
	v_fmac_f32_e32 v38, v115, v34
	v_dual_mul_f32 v34, v12, v41 :: v_dual_mul_f32 v41, v25, v43
	s_delay_alu instid0(VALU_DEP_1) | instskip(NEXT) | instid1(VALU_DEP_1)
	v_dual_mul_f32 v4, v33, v117 :: v_dual_fmac_f32 v41, v24, v42
	v_fma_f32 v35, v32, v118, -v4
	ds_load_b64 v[4:5], v78 offset:29000
	ds_load_b64 v[32:33], v78
	v_fmac_f32_e32 v34, v11, v40
	v_fma_f32 v40, v12, v40, -v10
	v_fma_f32 v42, v25, v42, -v13
	s_wait_loadcnt 0x0
	v_mul_f32_e32 v11, v22, v45
	v_add_f32_e32 v51, v36, v41
	v_add_f32_e32 v25, v39, v40
	s_delay_alu instid0(VALU_DEP_3) | instskip(SKIP_2) | instid1(VALU_DEP_3)
	v_fma_f32 v11, v23, v44, -v11
	s_wait_dscnt 0x0
	v_add_f32_e32 v13, v32, v36
	v_fma_f32 v25, -0.5, v25, v33
	v_mul_f32_e32 v10, v23, v45
	v_dual_sub_f32 v45, v36, v41 :: v_dual_fmac_f32 v6, v113, v28
	s_delay_alu instid0(VALU_DEP_4) | instskip(SKIP_1) | instid1(VALU_DEP_3)
	v_add_f32_e32 v23, v13, v38
	v_dual_mul_f32 v12, v5, v47 :: v_dual_sub_f32 v49, v38, v34
	v_dual_fmamk_f32 v31, v45, 0x3f737871, v25 :: v_dual_fmac_f32 v10, v22, v44
	v_dual_mul_f32 v22, v4, v47 :: v_dual_sub_f32 v47, v39, v40
	s_delay_alu instid0(VALU_DEP_4) | instskip(NEXT) | instid1(VALU_DEP_3)
	v_add_f32_e32 v23, v23, v34
	v_dual_fmac_f32 v12, v4, v46 :: v_dual_fmac_f32 v31, 0x3f167918, v49
	s_delay_alu instid0(VALU_DEP_3)
	v_fma_f32 v13, v5, v46, -v22
	v_sub_f32_e32 v5, v36, v38
	v_sub_f32_e32 v22, v41, v34
	v_add_f32_e32 v24, v38, v34
	v_sub_f32_e32 v36, v38, v36
	v_add_f32_e32 v38, v35, v42
	v_sub_f32_e32 v44, v35, v42
	v_dual_add_f32 v43, v5, v22 :: v_dual_add_f32 v22, v23, v41
	v_sub_f32_e32 v5, v35, v39
	v_sub_f32_e32 v23, v42, v40
	v_fmac_f32_e32 v25, 0xbf737871, v45
	ds_load_b64 v[28:29], v83
	v_dual_sub_f32 v34, v34, v41 :: v_dual_sub_f32 v41, v133, v140
	v_add_f32_e32 v50, v5, v23
	v_dual_add_f32 v4, v33, v35 :: v_dual_fmac_f32 v33, -0.5, v38
	v_dual_sub_f32 v38, v39, v35 :: v_dual_fmac_f32 v25, 0xbf167918, v49
	s_delay_alu instid0(VALU_DEP_2) | instskip(NEXT) | instid1(VALU_DEP_3)
	v_dual_fmac_f32 v31, 0x3e9e377a, v50 :: v_dual_add_f32 v4, v4, v39
	v_fmamk_f32 v35, v49, 0xbf737871, v33
	v_fma_f32 v24, -0.5, v24, v32
	v_fmac_f32_e32 v33, 0x3f737871, v49
	v_sub_f32_e32 v39, v40, v42
	v_add_f32_e32 v4, v4, v40
	v_and_b32_e32 v46, 0xffff, v84
	v_fmac_f32_e32 v35, 0x3f167918, v45
	v_fmamk_f32 v30, v44, 0xbf737871, v24
	v_lshl_add_u32 v84, v62, 3, 0
	v_add_f32_e32 v23, v4, v42
	v_mul_u32_u24_e32 v5, 0x78, v46
	v_dual_fmac_f32 v33, 0xbf167918, v45 :: v_dual_lshlrev_b32 v46, 3, v112
	v_fmac_f32_e32 v30, 0xbf167918, v47
	v_dual_fmac_f32 v25, 0x3e9e377a, v50 :: v_dual_add_f32 v38, v38, v39
	v_sub_f32_e32 v39, v121, v140
	s_delay_alu instid0(VALU_DEP_4) | instskip(NEXT) | instid1(VALU_DEP_4)
	v_add3_u32 v46, 0, v5, v46
	v_fmac_f32_e32 v30, 0x3e9e377a, v43
	ds_load_b64 v[4:5], v84
	v_fmac_f32_e32 v35, 0x3e9e377a, v38
	global_wb scope:SCOPE_SE
	s_wait_dscnt 0x0
	s_barrier_signal -1
	v_fma_f32 v32, -0.5, v51, v32
	s_barrier_wait -1
	global_inv scope:SCOPE_SE
	ds_store_2addr_b64 v46, v[22:23], v[30:31] offset1:3
	v_add_f32_e32 v23, v27, v132
	v_fmac_f32_e32 v33, 0x3e9e377a, v38
	v_add_f32_e32 v36, v36, v34
	v_fmamk_f32 v34, v47, 0x3f737871, v32
	s_delay_alu instid0(VALU_DEP_4) | instskip(SKIP_2) | instid1(VALU_DEP_4)
	v_dual_sub_f32 v38, v129, v138 :: v_dual_add_f32 v23, v23, v133
	v_fmac_f32_e32 v32, 0xbf737871, v47
	v_fmac_f32_e32 v24, 0x3f737871, v44
	v_dual_fmac_f32 v34, 0xbf167918, v44 :: v_dual_sub_f32 v31, v138, v137
	s_delay_alu instid0(VALU_DEP_4) | instskip(NEXT) | instid1(VALU_DEP_4)
	v_add_f32_e32 v23, v23, v140
	v_fmac_f32_e32 v32, 0x3f167918, v44
	s_delay_alu instid0(VALU_DEP_4) | instskip(NEXT) | instid1(VALU_DEP_4)
	v_fmac_f32_e32 v24, 0x3f167918, v47
	v_fmac_f32_e32 v34, 0x3e9e377a, v36
	v_add_f32_e32 v44, v132, v121
	v_sub_f32_e32 v30, v129, v130
	v_dual_fmac_f32 v32, 0x3e9e377a, v36 :: v_dual_add_f32 v23, v23, v121
	v_dual_fmac_f32 v24, 0x3e9e377a, v43 :: v_dual_add_f32 v43, v129, v138
	v_sub_f32_e32 v42, v130, v137
	ds_store_2addr_b64 v46, v[34:35], v[32:33] offset0:6 offset1:9
	v_dual_add_f32 v33, v133, v140 :: v_dual_add_f32 v34, v30, v31
	v_dual_sub_f32 v35, v132, v133 :: v_dual_and_b32 v40, 0xffff, v110
	s_delay_alu instid0(VALU_DEP_2) | instskip(SKIP_1) | instid1(VALU_DEP_3)
	v_fma_f32 v31, -0.5, v33, v27
	v_dual_fmac_f32 v27, -0.5, v44 :: v_dual_add_f32 v32, v130, v137
	v_dual_sub_f32 v36, v132, v121 :: v_dual_add_f32 v35, v35, v39
	s_delay_alu instid0(VALU_DEP_3) | instskip(SKIP_1) | instid1(VALU_DEP_4)
	v_fmamk_f32 v33, v38, 0x3f737871, v31
	v_add_f32_e32 v22, v26, v129
	v_fma_f32 v30, -0.5, v32, v26
	v_fma_f32 v26, -0.5, v43, v26
	v_sub_f32_e32 v43, v137, v138
	ds_store_b64 v46, v[24:25] offset:96
	v_dual_fmamk_f32 v25, v42, 0xbf737871, v27 :: v_dual_fmamk_f32 v32, v36, 0xbf737871, v30
	v_mul_u32_u24_e32 v39, 0x78, v40
	v_fmac_f32_e32 v30, 0x3f737871, v36
	s_delay_alu instid0(VALU_DEP_3) | instskip(SKIP_4) | instid1(VALU_DEP_3)
	v_fmac_f32_e32 v25, 0x3f167918, v38
	v_fmac_f32_e32 v33, 0x3f167918, v42
	v_add_f32_e32 v22, v22, v130
	v_fmac_f32_e32 v32, 0xbf167918, v41
	v_dual_fmac_f32 v27, 0x3f737871, v42 :: v_dual_lshlrev_b32 v40, 3, v111
	v_dual_fmac_f32 v33, 0x3e9e377a, v35 :: v_dual_add_f32 v22, v22, v137
	s_delay_alu instid0(VALU_DEP_3) | instskip(NEXT) | instid1(VALU_DEP_3)
	v_fmac_f32_e32 v32, 0x3e9e377a, v34
	v_fmac_f32_e32 v27, 0xbf167918, v38
	s_delay_alu instid0(VALU_DEP_4)
	v_add3_u32 v39, 0, v39, v40
	v_fmac_f32_e32 v30, 0x3f167918, v41
	v_add_f32_e32 v22, v22, v138
	ds_store_2addr_b64 v39, v[22:23], v[32:33] offset1:3
	v_dual_sub_f32 v23, v133, v132 :: v_dual_sub_f32 v32, v140, v121
	v_sub_f32_e32 v33, v122, v139
	s_delay_alu instid0(VALU_DEP_2) | instskip(NEXT) | instid1(VALU_DEP_1)
	v_dual_add_f32 v23, v23, v32 :: v_dual_add_f32 v32, v29, v135
	v_fmac_f32_e32 v25, 0x3e9e377a, v23
	v_fmac_f32_e32 v27, 0x3e9e377a, v23
	s_delay_alu instid0(VALU_DEP_3) | instskip(SKIP_1) | instid1(VALU_DEP_2)
	v_dual_add_f32 v23, v32, v136 :: v_dual_sub_f32 v40, v130, v129
	v_fmac_f32_e32 v31, 0xbf737871, v38
	v_dual_add_f32 v23, v23, v119 :: v_dual_fmamk_f32 v24, v41, 0x3f737871, v26
	v_fmac_f32_e32 v26, 0xbf737871, v41
	s_delay_alu instid0(VALU_DEP_3) | instskip(NEXT) | instid1(VALU_DEP_3)
	v_dual_add_f32 v22, v40, v43 :: v_dual_fmac_f32 v31, 0xbf167918, v42
	v_add_f32_e32 v23, v23, v120
	s_delay_alu instid0(VALU_DEP_4) | instskip(NEXT) | instid1(VALU_DEP_4)
	v_fmac_f32_e32 v24, 0xbf167918, v36
	v_fmac_f32_e32 v26, 0x3f167918, v36
	v_dual_sub_f32 v40, v136, v135 :: v_dual_sub_f32 v41, v119, v120
	s_delay_alu instid0(VALU_DEP_3) | instskip(NEXT) | instid1(VALU_DEP_3)
	v_dual_fmac_f32 v31, 0x3e9e377a, v35 :: v_dual_fmac_f32 v24, 0x3e9e377a, v22
	v_fmac_f32_e32 v26, 0x3e9e377a, v22
	v_sub_f32_e32 v36, v131, v122
	s_delay_alu instid0(VALU_DEP_4)
	v_add_f32_e32 v40, v40, v41
	v_fmac_f32_e32 v30, 0x3e9e377a, v34
	ds_store_2addr_b64 v39, v[24:25], v[26:27] offset0:6 offset1:9
	ds_store_b64 v39, v[30:31] offset:96
	v_mul_u32_u24_e32 v30, 0x78, v77
	v_lshlrev_b32_e32 v31, 3, v109
	v_dual_add_f32 v25, v136, v119 :: v_dual_sub_f32 v26, v135, v136
	v_sub_f32_e32 v27, v120, v119
	v_sub_f32_e32 v39, v134, v139
	s_delay_alu instid0(VALU_DEP_4)
	v_add3_u32 v35, 0, v30, v31
	v_add_f32_e32 v31, v135, v120
	v_fma_f32 v25, -0.5, v25, v29
	v_add_f32_e32 v34, v26, v27
	v_dual_sub_f32 v27, v134, v131 :: v_dual_sub_f32 v30, v139, v122
	v_add_f32_e32 v22, v28, v131
	v_dual_fmac_f32 v29, -0.5, v31 :: v_dual_sub_f32 v32, v131, v134
	s_delay_alu instid0(VALU_DEP_3) | instskip(NEXT) | instid1(VALU_DEP_3)
	v_dual_add_f32 v24, v134, v139 :: v_dual_add_f32 v27, v27, v30
	v_dual_add_f32 v22, v22, v134 :: v_dual_fmamk_f32 v31, v36, 0x3f737871, v25
	s_delay_alu instid0(VALU_DEP_3) | instskip(NEXT) | instid1(VALU_DEP_3)
	v_dual_add_f32 v32, v32, v33 :: v_dual_add_f32 v33, v131, v122
	v_fma_f32 v24, -0.5, v24, v28
	v_sub_f32_e32 v38, v135, v120
	s_delay_alu instid0(VALU_DEP_4) | instskip(SKIP_2) | instid1(VALU_DEP_4)
	v_add_f32_e32 v22, v22, v139
	v_fmac_f32_e32 v31, 0x3f167918, v39
	v_fma_f32 v28, -0.5, v33, v28
	v_dual_sub_f32 v33, v136, v119 :: v_dual_fmamk_f32 v30, v38, 0xbf737871, v24
	s_delay_alu instid0(VALU_DEP_1) | instskip(SKIP_1) | instid1(VALU_DEP_3)
	v_fmamk_f32 v26, v33, 0x3f737871, v28
	v_fmac_f32_e32 v28, 0xbf737871, v33
	v_fmac_f32_e32 v30, 0xbf167918, v33
	s_delay_alu instid0(VALU_DEP_3) | instskip(NEXT) | instid1(VALU_DEP_3)
	v_fmac_f32_e32 v26, 0xbf167918, v38
	v_fmac_f32_e32 v28, 0x3f167918, v38
	s_delay_alu instid0(VALU_DEP_3) | instskip(NEXT) | instid1(VALU_DEP_3)
	v_fmac_f32_e32 v30, 0x3e9e377a, v32
	v_fmac_f32_e32 v26, 0x3e9e377a, v27
	s_delay_alu instid0(VALU_DEP_3) | instskip(SKIP_2) | instid1(VALU_DEP_2)
	v_fmac_f32_e32 v28, 0x3e9e377a, v27
	v_fmamk_f32 v27, v39, 0xbf737871, v29
	v_dual_fmac_f32 v29, 0x3f737871, v39 :: v_dual_add_f32 v22, v22, v122
	v_fmac_f32_e32 v27, 0x3f167918, v36
	s_delay_alu instid0(VALU_DEP_2) | instskip(NEXT) | instid1(VALU_DEP_2)
	v_fmac_f32_e32 v29, 0xbf167918, v36
	v_fmac_f32_e32 v27, 0x3e9e377a, v40
	s_delay_alu instid0(VALU_DEP_2)
	v_fmac_f32_e32 v29, 0x3e9e377a, v40
	v_fmac_f32_e32 v31, 0x3e9e377a, v34
	ds_store_2addr_b64 v35, v[22:23], v[30:31] offset1:3
	v_sub_f32_e32 v23, v125, v48
	v_fmac_f32_e32 v25, 0xbf737871, v36
	v_add_f32_e32 v31, v125, v48
	s_delay_alu instid0(VALU_DEP_2) | instskip(SKIP_2) | instid1(VALU_DEP_3)
	v_fmac_f32_e32 v25, 0xbf167918, v39
	v_fmac_f32_e32 v24, 0x3f737871, v38
	v_dual_add_f32 v38, v124, v127 :: v_dual_add_f32 v39, v15, v21
	v_fmac_f32_e32 v25, 0x3e9e377a, v34
	s_delay_alu instid0(VALU_DEP_3) | instskip(NEXT) | instid1(VALU_DEP_3)
	v_dual_fmac_f32 v24, 0x3f167918, v33 :: v_dual_sub_f32 v33, v124, v127
	v_fma_f32 v22, -0.5, v38, v4
	v_sub_f32_e32 v30, v127, v128
	v_sub_f32_e32 v38, v18, v20
	s_delay_alu instid0(VALU_DEP_4) | instskip(SKIP_3) | instid1(VALU_DEP_1)
	v_fmac_f32_e32 v24, 0x3e9e377a, v32
	v_sub_f32_e32 v32, v123, v128
	ds_store_b64 v35, v[24:25] offset:96
	v_dual_add_f32 v25, v5, v125 :: v_dual_add_f32 v24, v4, v123
	v_add_f32_e32 v25, v25, v126
	s_delay_alu instid0(VALU_DEP_1) | instskip(SKIP_4) | instid1(VALU_DEP_3)
	v_add_f32_e32 v25, v25, v37
	ds_store_2addr_b64 v35, v[26:27], v[28:29] offset0:6 offset1:9
	v_dual_sub_f32 v27, v123, v124 :: v_dual_sub_f32 v28, v128, v127
	v_dual_sub_f32 v29, v126, v37 :: v_dual_fmamk_f32 v26, v23, 0xbf737871, v22
	v_dual_fmac_f32 v22, 0x3f737871, v23 :: v_dual_sub_f32 v35, v37, v48
	v_add_f32_e32 v27, v27, v28
	v_add_f32_e32 v28, v123, v128
	s_delay_alu instid0(VALU_DEP_4) | instskip(NEXT) | instid1(VALU_DEP_2)
	v_fmac_f32_e32 v26, 0xbf167918, v29
	v_fma_f32 v4, -0.5, v28, v4
	v_add_f32_e32 v28, v24, v124
	s_delay_alu instid0(VALU_DEP_3) | instskip(NEXT) | instid1(VALU_DEP_3)
	v_fmac_f32_e32 v26, 0x3e9e377a, v27
	v_fmamk_f32 v24, v29, 0x3f737871, v4
	v_fmac_f32_e32 v4, 0xbf737871, v29
	s_delay_alu instid0(VALU_DEP_2) | instskip(NEXT) | instid1(VALU_DEP_2)
	v_fmac_f32_e32 v24, 0xbf167918, v23
	v_dual_fmac_f32 v4, 0x3f167918, v23 :: v_dual_add_f32 v23, v126, v37
	s_delay_alu instid0(VALU_DEP_1) | instskip(SKIP_4) | instid1(VALU_DEP_3)
	v_fma_f32 v23, -0.5, v23, v5
	v_fmac_f32_e32 v5, -0.5, v31
	v_sub_f32_e32 v31, v126, v125
	v_dual_fmac_f32 v22, 0x3f167918, v29 :: v_dual_add_f32 v29, v25, v48
	v_sub_f32_e32 v25, v125, v126
	v_add_f32_e32 v31, v31, v35
	s_delay_alu instid0(VALU_DEP_3) | instskip(SKIP_2) | instid1(VALU_DEP_2)
	v_fmac_f32_e32 v22, 0x3e9e377a, v27
	v_sub_f32_e32 v27, v124, v123
	v_sub_f32_e32 v35, v20, v18
	v_dual_add_f32 v30, v27, v30 :: v_dual_sub_f32 v27, v48, v37
	s_delay_alu instid0(VALU_DEP_1) | instskip(SKIP_4) | instid1(VALU_DEP_4)
	v_dual_sub_f32 v37, v16, v14 :: v_dual_add_f32 v34, v25, v27
	v_fmamk_f32 v27, v32, 0x3f737871, v23
	v_fmac_f32_e32 v23, 0xbf737871, v32
	v_fmamk_f32 v25, v33, 0xbf737871, v5
	v_fmac_f32_e32 v5, 0x3f737871, v33
	v_fmac_f32_e32 v27, 0x3f167918, v33
	s_delay_alu instid0(VALU_DEP_4) | instskip(SKIP_1) | instid1(VALU_DEP_2)
	v_fmac_f32_e32 v23, 0xbf167918, v33
	v_add_f32_e32 v33, v16, v18
	v_dual_fmac_f32 v23, 0x3e9e377a, v34 :: v_dual_add_f32 v28, v28, v127
	v_fmac_f32_e32 v25, 0x3f167918, v32
	v_fmac_f32_e32 v5, 0xbf167918, v32
	s_delay_alu instid0(VALU_DEP_2) | instskip(NEXT) | instid1(VALU_DEP_2)
	v_dual_fmac_f32 v4, 0x3e9e377a, v30 :: v_dual_fmac_f32 v25, 0x3e9e377a, v31
	v_fmac_f32_e32 v5, 0x3e9e377a, v31
	v_add_f32_e32 v31, v2, v14
	v_fmac_f32_e32 v24, 0x3e9e377a, v30
	v_fma_f32 v30, -0.5, v33, v2
	v_sub_f32_e32 v33, v15, v21
	s_delay_alu instid0(VALU_DEP_4) | instskip(SKIP_2) | instid1(VALU_DEP_3)
	v_add_f32_e32 v31, v31, v16
	v_dual_add_f32 v28, v28, v128 :: v_dual_fmac_f32 v27, 0x3e9e377a, v34
	v_sub_f32_e32 v34, v14, v16
	v_dual_fmamk_f32 v32, v33, 0xbf737871, v30 :: v_dual_add_f32 v31, v31, v18
	v_sub_f32_e32 v16, v16, v18
	s_delay_alu instid0(VALU_DEP_3) | instskip(SKIP_3) | instid1(VALU_DEP_3)
	v_add_f32_e32 v34, v34, v35
	v_add_f32_e32 v35, v14, v20
	v_sub_f32_e32 v14, v14, v20
	v_add_f32_e32 v38, v37, v38
	v_fma_f32 v2, -0.5, v35, v2
	v_add_f32_e32 v35, v3, v15
	s_delay_alu instid0(VALU_DEP_1) | instskip(NEXT) | instid1(VALU_DEP_1)
	v_add_f32_e32 v35, v35, v17
	v_dual_fmac_f32 v30, 0x3f737871, v33 :: v_dual_add_f32 v35, v35, v19
	s_delay_alu instid0(VALU_DEP_1) | instskip(NEXT) | instid1(VALU_DEP_1)
	v_dual_sub_f32 v36, v17, v19 :: v_dual_add_f32 v37, v35, v21
	v_fmac_f32_e32 v32, 0xbf167918, v36
	s_delay_alu instid0(VALU_DEP_3) | instskip(NEXT) | instid1(VALU_DEP_2)
	v_dual_fmac_f32 v30, 0x3f167918, v36 :: v_dual_sub_f32 v35, v21, v19
	v_fmac_f32_e32 v32, 0x3e9e377a, v34
	s_delay_alu instid0(VALU_DEP_2) | instskip(SKIP_4) | instid1(VALU_DEP_4)
	v_fmac_f32_e32 v30, 0x3e9e377a, v34
	v_fmamk_f32 v34, v36, 0x3f737871, v2
	v_fmac_f32_e32 v2, 0xbf737871, v36
	v_dual_add_f32 v36, v31, v20 :: v_dual_add_f32 v31, v17, v19
	v_sub_f32_e32 v20, v9, v11
	v_fmac_f32_e32 v34, 0xbf167918, v33
	s_delay_alu instid0(VALU_DEP_4)
	v_fmac_f32_e32 v2, 0x3f167918, v33
	v_sub_f32_e32 v33, v15, v17
	v_fma_f32 v31, -0.5, v31, v3
	v_sub_f32_e32 v15, v17, v15
	v_sub_f32_e32 v17, v19, v21
	v_fmac_f32_e32 v3, -0.5, v39
	v_sub_f32_e32 v21, v8, v6
	s_delay_alu instid0(VALU_DEP_3)
	v_dual_add_f32 v15, v15, v17 :: v_dual_add_f32 v18, v33, v35
	v_fmamk_f32 v33, v14, 0x3f737871, v31
	v_fmac_f32_e32 v31, 0xbf737871, v14
	v_fmamk_f32 v35, v16, 0xbf737871, v3
	v_fmac_f32_e32 v3, 0x3f737871, v16
	v_sub_f32_e32 v17, v7, v13
	v_fmac_f32_e32 v33, 0x3f167918, v16
	v_dual_fmac_f32 v31, 0xbf167918, v16 :: v_dual_add_f32 v16, v8, v10
	v_fmac_f32_e32 v35, 0x3f167918, v14
	v_fmac_f32_e32 v3, 0xbf167918, v14
	;; [unrolled: 1-line block ×3, first 2 shown]
	s_delay_alu instid0(VALU_DEP_4) | instskip(SKIP_1) | instid1(VALU_DEP_1)
	v_fmac_f32_e32 v31, 0x3e9e377a, v18
	v_fma_f32 v14, -0.5, v16, v0
	v_dual_sub_f32 v19, v12, v10 :: v_dual_fmamk_f32 v16, v17, 0xbf737871, v14
	v_dual_fmac_f32 v33, 0x3e9e377a, v18 :: v_dual_sub_f32 v18, v6, v8
	v_dual_fmac_f32 v34, 0x3e9e377a, v38 :: v_dual_fmac_f32 v35, 0x3e9e377a, v15
	v_fmac_f32_e32 v14, 0x3f737871, v17
	s_delay_alu instid0(VALU_DEP_4) | instskip(NEXT) | instid1(VALU_DEP_4)
	v_fmac_f32_e32 v16, 0xbf167918, v20
	v_add_f32_e32 v18, v18, v19
	v_add_f32_e32 v19, v6, v12
	v_fmac_f32_e32 v3, 0x3e9e377a, v15
	v_dual_add_f32 v15, v0, v6 :: v_dual_fmac_f32 v14, 0x3f167918, v20
	v_sub_f32_e32 v38, v10, v12
	s_delay_alu instid0(VALU_DEP_4) | instskip(SKIP_1) | instid1(VALU_DEP_4)
	v_fma_f32 v0, -0.5, v19, v0
	v_dual_add_f32 v19, v1, v7 :: v_dual_fmac_f32 v16, 0x3e9e377a, v18
	v_dual_fmac_f32 v14, 0x3e9e377a, v18 :: v_dual_add_f32 v15, v15, v8
	s_delay_alu instid0(VALU_DEP_2) | instskip(SKIP_2) | instid1(VALU_DEP_3)
	v_dual_fmamk_f32 v18, v20, 0x3f737871, v0 :: v_dual_add_f32 v19, v19, v9
	v_fmac_f32_e32 v0, 0xbf737871, v20
	v_add_f32_e32 v38, v21, v38
	v_dual_add_f32 v15, v15, v10 :: v_dual_fmac_f32 v18, 0xbf167918, v17
	s_delay_alu instid0(VALU_DEP_3) | instskip(SKIP_1) | instid1(VALU_DEP_2)
	v_dual_add_f32 v19, v19, v11 :: v_dual_fmac_f32 v0, 0x3f167918, v17
	v_dual_sub_f32 v17, v7, v9 :: v_dual_sub_f32 v8, v8, v10
	v_dual_sub_f32 v6, v6, v12 :: v_dual_add_f32 v21, v19, v13
	v_sub_f32_e32 v19, v13, v11
	s_delay_alu instid0(VALU_DEP_4) | instskip(NEXT) | instid1(VALU_DEP_2)
	v_dual_add_f32 v39, v7, v13 :: v_dual_fmac_f32 v0, 0x3e9e377a, v38
	v_add_f32_e32 v10, v17, v19
	v_dual_add_f32 v20, v15, v12 :: v_dual_add_f32 v15, v9, v11
	v_dual_sub_f32 v7, v9, v7 :: v_dual_fmac_f32 v18, 0x3e9e377a, v38
	v_sub_f32_e32 v9, v11, v13
	s_delay_alu instid0(VALU_DEP_3) | instskip(SKIP_1) | instid1(VALU_DEP_3)
	v_fma_f32 v15, -0.5, v15, v1
	v_fmac_f32_e32 v1, -0.5, v39
	v_add_f32_e32 v7, v7, v9
	v_mul_lo_u16 v9, 0x89, v64
	s_delay_alu instid0(VALU_DEP_4)
	v_fmamk_f32 v17, v6, 0x3f737871, v15
	v_fmac_f32_e32 v15, 0xbf737871, v6
	v_fmamk_f32 v19, v8, 0xbf737871, v1
	v_fmac_f32_e32 v1, 0x3f737871, v8
	v_lshrrev_b16 v38, 11, v9
	v_fmac_f32_e32 v17, 0x3f167918, v8
	v_dual_fmac_f32 v15, 0xbf167918, v8 :: v_dual_lshlrev_b32 v8, 3, v74
	s_delay_alu instid0(VALU_DEP_4) | instskip(NEXT) | instid1(VALU_DEP_4)
	v_fmac_f32_e32 v1, 0xbf167918, v6
	v_mul_lo_u16 v9, v38, 15
	s_delay_alu instid0(VALU_DEP_4) | instskip(NEXT) | instid1(VALU_DEP_4)
	v_fmac_f32_e32 v17, 0x3e9e377a, v10
	v_fmac_f32_e32 v15, 0x3e9e377a, v10
	v_lshlrev_b32_e32 v10, 3, v70
	v_fmac_f32_e32 v19, 0x3f167918, v6
	v_mul_u32_u24_e32 v6, 0x78, v73
	v_fmac_f32_e32 v1, 0x3e9e377a, v7
	v_and_b32_e32 v38, 0xffff, v38
	s_delay_alu instid0(VALU_DEP_4) | instskip(NEXT) | instid1(VALU_DEP_4)
	v_fmac_f32_e32 v19, 0x3e9e377a, v7
	v_add3_u32 v6, 0, v6, v8
	v_mul_u32_u24_e32 v8, 0x78, v71
	v_mul_u32_u24_e32 v7, 0x8889, v65
	ds_store_2addr_b64 v6, v[28:29], v[26:27] offset1:3
	ds_store_2addr_b64 v6, v[24:25], v[4:5] offset0:6 offset1:9
	v_add3_u32 v4, 0, v8, v10
	v_mul_u32_u24_e32 v5, 0x78, v76
	v_lshlrev_b32_e32 v8, 3, v75
	ds_store_b64 v6, v[22:23] offset:96
	ds_store_2addr_b64 v4, v[36:37], v[32:33] offset1:3
	v_lshrrev_b32_e32 v36, 19, v7
	ds_store_2addr_b64 v4, v[34:35], v[2:3] offset0:6 offset1:9
	ds_store_b64 v4, v[30:31] offset:96
	v_add3_u32 v5, 0, v5, v8
	v_sub_nc_u16 v6, v56, v9
	v_mul_u32_u24_e32 v38, 0x258, v38
	v_mul_lo_u16 v2, v36, 15
	ds_store_2addr_b64 v5, v[20:21], v[16:17] offset1:3
	ds_store_2addr_b64 v5, v[18:19], v[0:1] offset0:6 offset1:9
	ds_store_b64 v5, v[14:15] offset:96
	global_wb scope:SCOPE_SE
	s_wait_dscnt 0x0
	v_sub_nc_u16 v0, v63, v2
	s_barrier_signal -1
	s_barrier_wait -1
	global_inv scope:SCOPE_SE
	v_mul_u32_u24_e32 v2, 0x8889, v68
	v_and_b32_e32 v37, 0xffff, v0
	s_delay_alu instid0(VALU_DEP_2) | instskip(NEXT) | instid1(VALU_DEP_2)
	v_lshrrev_b32_e32 v30, 19, v2
	v_lshlrev_b32_e32 v0, 5, v37
	v_mul_u32_u24_e32 v2, 0x8889, v66
	s_delay_alu instid0(VALU_DEP_3)
	v_mul_lo_u16 v3, v30, 15
	s_clause 0x1
	global_load_b128 v[20:23], v0, s[4:5] offset:96
	global_load_b128 v[40:43], v0, s[4:5] offset:112
	v_and_b32_e32 v39, 0xff, v6
	v_lshrrev_b32_e32 v31, 19, v2
	s_delay_alu instid0(VALU_DEP_2) | instskip(NEXT) | instid1(VALU_DEP_2)
	v_lshlrev_b32_e32 v1, 5, v39
	v_mul_lo_u16 v2, v31, 15
	s_clause 0x1
	global_load_b128 v[16:19], v1, s[4:5] offset:96
	global_load_b128 v[24:27], v1, s[4:5] offset:112
	v_sub_nc_u16 v1, v62, v3
	v_sub_nc_u16 v0, v61, v2
	v_mul_lo_u16 v2, 0x89, v67
	s_delay_alu instid0(VALU_DEP_3) | instskip(NEXT) | instid1(VALU_DEP_3)
	v_and_b32_e32 v33, 0xffff, v1
	v_and_b32_e32 v32, 0xffff, v0
	s_delay_alu instid0(VALU_DEP_3) | instskip(SKIP_1) | instid1(VALU_DEP_4)
	v_lshrrev_b16 v118, 11, v2
	v_mul_u32_u24_e32 v2, 0x8889, v69
	v_lshlrev_b32_e32 v1, 5, v33
	s_delay_alu instid0(VALU_DEP_4) | instskip(NEXT) | instid1(VALU_DEP_3)
	v_lshlrev_b32_e32 v0, 5, v32
	v_lshrrev_b32_e32 v34, 19, v2
	s_clause 0x1
	global_load_b128 v[44:47], v1, s[4:5] offset:96
	global_load_b128 v[124:127], v1, s[4:5] offset:112
	v_mul_lo_u16 v1, v118, 15
	s_clause 0x1
	global_load_b128 v[120:123], v0, s[4:5] offset:96
	global_load_b128 v[128:131], v0, s[4:5] offset:112
	v_mul_lo_u16 v2, v34, 15
	v_sub_nc_u16 v1, v52, v1
	s_delay_alu instid0(VALU_DEP_2) | instskip(NEXT) | instid1(VALU_DEP_2)
	v_sub_nc_u16 v0, v60, v2
	v_and_b32_e32 v119, 0xff, v1
	s_delay_alu instid0(VALU_DEP_2) | instskip(NEXT) | instid1(VALU_DEP_2)
	v_and_b32_e32 v35, 0xffff, v0
	v_lshlrev_b32_e32 v4, 5, v119
	s_delay_alu instid0(VALU_DEP_2)
	v_lshlrev_b32_e32 v8, 5, v35
	s_clause 0x3
	global_load_b128 v[12:15], v4, s[4:5] offset:96
	global_load_b128 v[0:3], v8, s[4:5] offset:96
	;; [unrolled: 1-line block ×4, first 2 shown]
	ds_load_2addr_b64 v[48:51], v87 offset0:107 offset1:232
	ds_load_2addr_b64 v[66:69], v88 offset0:89 offset1:214
	;; [unrolled: 1-line block ×3, first 2 shown]
	ds_load_b64 v[28:29], v99
	ds_load_2addr_b64 v[136:139], v106 offset0:53 offset1:178
	ds_load_2addr_b64 v[140:143], v104 offset0:83 offset1:208
	s_wait_loadcnt_dscnt 0xb05
	v_mul_f32_e32 v74, v51, v21
	v_mul_f32_e32 v21, v50, v21
	s_wait_dscnt 0x4
	v_mul_f32_e32 v71, v69, v23
	s_wait_loadcnt_dscnt 0xa03
	v_dual_mul_f32 v23, v68, v23 :: v_dual_mul_f32 v76, v135, v41
	v_fmac_f32_e32 v74, v50, v20
	v_fma_f32 v70, v51, v20, -v21
	v_fmac_f32_e32 v71, v68, v22
	s_delay_alu instid0(VALU_DEP_4)
	v_fma_f32 v73, v69, v22, -v23
	v_fmac_f32_e32 v76, v134, v40
	s_wait_loadcnt 0x9
	v_mul_f32_e32 v112, v49, v17
	s_wait_loadcnt 0x8
	v_mul_f32_e32 v116, v133, v25
	v_mul_f32_e32 v20, v132, v25
	;; [unrolled: 1-line block ×3, first 2 shown]
	v_dual_mul_f32 v113, v67, v19 :: v_dual_fmac_f32 v112, v48, v16
	s_delay_alu instid0(VALU_DEP_4) | instskip(NEXT) | instid1(VALU_DEP_4)
	v_fmac_f32_e32 v116, v132, v24
	v_fma_f32 v114, v133, v24, -v20
	ds_load_2addr_b64 v[22:25], v102 offset0:65 offset1:190
	v_mul_f32_e32 v19, v66, v19
	v_fma_f32 v110, v49, v16, -v17
	v_fmac_f32_e32 v113, v66, v18
	s_wait_dscnt 0x2
	v_dual_mul_f32 v20, v134, v41 :: v_dual_mul_f32 v21, v136, v27
	v_mul_f32_e32 v117, v137, v27
	v_lshlrev_b32_e32 v39, 3, v39
	s_delay_alu instid0(VALU_DEP_3)
	v_fma_f32 v75, v135, v40, -v20
	ds_load_2addr_b64 v[132:135], v101 offset0:47 offset1:172
	v_fma_f32 v115, v137, v26, -v21
	v_mul_f32_e32 v21, v138, v43
	s_wait_loadcnt_dscnt 0x702
	v_mul_f32_e32 v49, v141, v47
	s_wait_loadcnt 0x5
	v_mul_f32_e32 v41, v143, v123
	v_add3_u32 v38, 0, v38, v39
	v_fma_f32 v77, v139, v42, -v21
	v_fmac_f32_e32 v49, v140, v46
	s_wait_dscnt 0x1
	v_dual_fmac_f32 v41, v142, v122 :: v_dual_mul_f32 v68, v23, v125
	v_fma_f32 v111, v67, v18, -v19
	ds_load_2addr_b64 v[16:19], v105 offset0:101 offset1:226
	v_mul_f32_e32 v21, v22, v125
	v_fmac_f32_e32 v68, v22, v124
	s_delay_alu instid0(VALU_DEP_2)
	v_fma_f32 v66, v23, v124, -v21
	s_wait_dscnt 0x1
	v_mul_f32_e32 v69, v133, v127
	s_wait_loadcnt 0x3
	v_dual_mul_f32 v124, v13, v28 :: v_dual_mul_f32 v27, v134, v131
	s_wait_dscnt 0x0
	v_mul_f32_e32 v51, v17, v45
	v_mul_f32_e32 v20, v16, v45
	s_delay_alu instid0(VALU_DEP_3) | instskip(NEXT) | instid1(VALU_DEP_3)
	v_fma_f32 v45, v135, v130, -v27
	v_fmac_f32_e32 v51, v16, v44
	v_mul_f32_e32 v16, v140, v47
	s_delay_alu instid0(VALU_DEP_4) | instskip(SKIP_2) | instid1(VALU_DEP_4)
	v_fma_f32 v48, v17, v44, -v20
	v_mul_f32_e32 v20, v142, v123
	v_mul_f32_e32 v47, v135, v131
	v_fma_f32 v50, v141, v46, -v16
	v_dual_mul_f32 v46, v25, v129 :: v_dual_mul_f32 v109, v139, v43
	s_delay_alu instid0(VALU_DEP_4)
	v_fma_f32 v43, v143, v122, -v20
	ds_load_2addr_b64 v[20:23], v97 offset0:77 offset1:202
	v_fmac_f32_e32 v117, v136, v26
	v_mul_f32_e32 v26, v132, v127
	v_dual_fmac_f32 v46, v24, v128 :: v_dual_fmac_f32 v109, v138, v42
	v_mul_f32_e32 v42, v19, v121
	s_delay_alu instid0(VALU_DEP_3) | instskip(SKIP_1) | instid1(VALU_DEP_3)
	v_fma_f32 v67, v133, v126, -v26
	v_mul_f32_e32 v26, v24, v129
	v_fmac_f32_e32 v42, v18, v120
	s_delay_alu instid0(VALU_DEP_2) | instskip(SKIP_2) | instid1(VALU_DEP_1)
	v_fma_f32 v44, v25, v128, -v26
	v_fma_f32 v128, v12, v29, -v124
	v_mul_f32_e32 v17, v18, v121
	v_fma_f32 v40, v19, v120, -v17
	ds_load_2addr_b64 v[16:19], v100 offset0:95 offset1:220
	ds_load_b64 v[24:25], v86
	ds_load_b64 v[26:27], v81
	ds_load_2addr_b64 v[120:123], v96 offset0:59 offset1:184
	v_dual_fmac_f32 v69, v132, v126 :: v_dual_mul_f32 v126, v13, v29
	s_wait_dscnt 0x3
	s_delay_alu instid0(VALU_DEP_1) | instskip(SKIP_1) | instid1(VALU_DEP_2)
	v_dual_fmac_f32 v126, v12, v28 :: v_dual_mul_f32 v127, v15, v19
	v_mul_f32_e32 v15, v15, v18
	v_fmac_f32_e32 v127, v14, v18
	s_wait_loadcnt 0x2
	v_mul_f32_e32 v13, v17, v1
	s_delay_alu instid0(VALU_DEP_3)
	v_fma_f32 v129, v14, v19, -v15
	v_mul_f32_e32 v1, v16, v1
	ds_load_b64 v[18:19], v78 offset:29000
	v_dual_mul_f32 v14, v21, v3 :: v_dual_fmac_f32 v47, v134, v130
	v_mul_f32_e32 v3, v20, v3
	v_fma_f32 v12, v17, v0, -v1
	v_sub_f32_e32 v17, v128, v129
	v_fmac_f32_e32 v13, v16, v0
	ds_load_b64 v[15:16], v83
	ds_load_b64 v[28:29], v82
	;; [unrolled: 1-line block ×3, first 2 shown]
	s_wait_loadcnt 0x1
	v_mul_f32_e32 v130, v5, v23
	v_mul_f32_e32 v0, v5, v22
	v_fmac_f32_e32 v14, v20, v2
	s_wait_dscnt 0x4
	v_mul_f32_e32 v20, v123, v7
	v_fma_f32 v5, v21, v2, -v3
	v_fmac_f32_e32 v130, v4, v22
	v_fma_f32 v4, v4, v23, -v0
	v_mul_f32_e32 v0, v122, v7
	s_wait_loadcnt 0x0
	v_dual_fmac_f32 v20, v122, v6 :: v_dual_mul_f32 v1, v120, v9
	v_mul_f32_e32 v7, v121, v9
	v_add_f32_e32 v39, v112, v117
	v_fma_f32 v21, v123, v6, -v0
	s_wait_dscnt 0x3
	v_mul_f32_e32 v9, v19, v11
	v_mul_f32_e32 v0, v18, v11
	v_fma_f32 v6, v121, v8, -v1
	v_fmac_f32_e32 v7, v120, v8
	v_sub_f32_e32 v120, v126, v20
	v_fmac_f32_e32 v9, v18, v10
	s_wait_dscnt 0x0
	v_dual_add_f32 v1, v124, v126 :: v_dual_add_f32 v2, v125, v128
	v_fma_f32 v8, v19, v10, -v0
	v_sub_f32_e32 v0, v126, v127
	s_delay_alu instid0(VALU_DEP_3) | instskip(NEXT) | instid1(VALU_DEP_4)
	v_dual_add_f32 v10, v127, v130 :: v_dual_add_f32 v1, v1, v127
	v_add_f32_e32 v2, v2, v129
	v_sub_f32_e32 v23, v128, v21
	v_sub_f32_e32 v3, v20, v130
	v_dual_sub_f32 v118, v129, v4 :: v_dual_and_b32 v19, 0xffff, v118
	v_sub_f32_e32 v18, v21, v4
	s_delay_alu instid0(VALU_DEP_3)
	v_add_f32_e32 v22, v0, v3
	v_dual_add_f32 v0, v1, v130 :: v_dual_add_f32 v1, v2, v4
	v_fma_f32 v2, -0.5, v10, v124
	v_add_f32_e32 v11, v129, v4
	v_mul_u32_u24_e32 v19, 0x258, v19
	v_sub_f32_e32 v4, v4, v21
	s_delay_alu instid0(VALU_DEP_4)
	v_fmamk_f32 v10, v23, 0xbf737871, v2
	v_fmac_f32_e32 v2, 0x3f737871, v23
	v_lshlrev_b32_e32 v119, 3, v119
	v_sub_f32_e32 v123, v127, v126
	v_fma_f32 v3, -0.5, v11, v125
	v_fmac_f32_e32 v10, 0xbf167918, v118
	v_fmac_f32_e32 v2, 0x3f167918, v118
	v_add3_u32 v119, 0, v19, v119
	v_dual_add_f32 v19, v126, v20 :: v_dual_add_f32 v126, v128, v21
	v_fmamk_f32 v11, v120, 0x3f737871, v3
	v_fmac_f32_e32 v10, 0x3e9e377a, v22
	v_fmac_f32_e32 v2, 0x3e9e377a, v22
	s_delay_alu instid0(VALU_DEP_4) | instskip(SKIP_2) | instid1(VALU_DEP_3)
	v_fma_f32 v124, -0.5, v19, v124
	v_dual_fmac_f32 v125, -0.5, v126 :: v_dual_sub_f32 v126, v129, v128
	v_sub_f32_e32 v22, v110, v115
	v_fmamk_f32 v19, v118, 0x3f737871, v124
	v_fmac_f32_e32 v124, 0xbf737871, v118
	v_sub_f32_e32 v118, v115, v114
	v_dual_add_f32 v4, v126, v4 :: v_dual_sub_f32 v121, v127, v130
	v_dual_add_f32 v122, v17, v18 :: v_dual_add_f32 v17, v0, v20
	v_sub_f32_e32 v20, v130, v20
	s_delay_alu instid0(VALU_DEP_1) | instskip(NEXT) | instid1(VALU_DEP_1)
	v_dual_add_f32 v123, v123, v20 :: v_dual_fmamk_f32 v20, v121, 0xbf737871, v125
	v_fmac_f32_e32 v20, 0x3f167918, v120
	v_fmac_f32_e32 v124, 0x3f167918, v23
	;; [unrolled: 1-line block ×3, first 2 shown]
	s_delay_alu instid0(VALU_DEP_3)
	v_dual_sub_f32 v23, v112, v117 :: v_dual_fmac_f32 v20, 0x3e9e377a, v4
	v_fmac_f32_e32 v125, 0x3f737871, v121
	v_fmac_f32_e32 v11, 0x3f167918, v121
	;; [unrolled: 1-line block ×3, first 2 shown]
	v_add_f32_e32 v18, v1, v21
	ds_load_b64 v[0:1], v84
	v_fmac_f32_e32 v125, 0xbf167918, v120
	global_wb scope:SCOPE_SE
	s_wait_dscnt 0x0
	s_barrier_signal -1
	s_barrier_wait -1
	global_inv scope:SCOPE_SE
	v_fmac_f32_e32 v125, 0x3e9e377a, v4
	v_dual_add_f32 v4, v28, v112 :: v_dual_fmac_f32 v11, 0x3e9e377a, v122
	s_delay_alu instid0(VALU_DEP_1)
	v_add_f32_e32 v4, v4, v113
	ds_store_2addr_b64 v119, v[17:18], v[10:11] offset1:15
	v_dual_sub_f32 v11, v112, v113 :: v_dual_add_f32 v10, v29, v110
	v_sub_f32_e32 v17, v117, v116
	v_add_f32_e32 v4, v4, v116
	v_add_f32_e32 v18, v113, v116
	v_sub_f32_e32 v112, v113, v112
	v_dual_add_f32 v10, v10, v111 :: v_dual_fmac_f32 v3, 0xbf737871, v120
	v_add_f32_e32 v21, v11, v17
	s_delay_alu instid0(VALU_DEP_4)
	v_fma_f32 v17, -0.5, v18, v28
	v_sub_f32_e32 v120, v111, v114
	v_fma_f32 v28, -0.5, v39, v28
	v_dual_add_f32 v11, v10, v114 :: v_dual_add_f32 v10, v4, v117
	v_sub_f32_e32 v4, v110, v111
	v_fmac_f32_e32 v19, 0x3e9e377a, v123
	v_fmac_f32_e32 v3, 0xbf167918, v121
	v_sub_f32_e32 v121, v113, v116
	v_sub_f32_e32 v113, v116, v117
	v_add_f32_e32 v4, v4, v118
	ds_store_2addr_b64 v119, v[19:20], v[124:125] offset0:30 offset1:45
	v_dual_add_f32 v19, v111, v114 :: v_dual_add_f32 v116, v110, v115
	v_add_f32_e32 v11, v11, v115
	s_delay_alu instid0(VALU_DEP_2) | instskip(SKIP_1) | instid1(VALU_DEP_4)
	v_fma_f32 v18, -0.5, v19, v29
	v_fmamk_f32 v19, v22, 0xbf737871, v17
	v_fmac_f32_e32 v29, -0.5, v116
	s_delay_alu instid0(VALU_DEP_3) | instskip(NEXT) | instid1(VALU_DEP_3)
	v_dual_fmac_f32 v17, 0x3f737871, v22 :: v_dual_fmamk_f32 v20, v23, 0x3f737871, v18
	v_fmac_f32_e32 v19, 0xbf167918, v120
	s_delay_alu instid0(VALU_DEP_2) | instskip(SKIP_1) | instid1(VALU_DEP_2)
	v_dual_fmac_f32 v17, 0x3f167918, v120 :: v_dual_fmac_f32 v20, 0x3f167918, v121
	v_fmac_f32_e32 v3, 0x3e9e377a, v122
	v_dual_fmac_f32 v19, 0x3e9e377a, v21 :: v_dual_fmac_f32 v20, 0x3e9e377a, v4
	ds_store_b64 v119, v[2:3] offset:480
	ds_store_2addr_b64 v38, v[10:11], v[19:20] offset1:15
	v_fmamk_f32 v2, v120, 0x3f737871, v28
	v_fmac_f32_e32 v28, 0xbf737871, v120
	v_dual_fmac_f32 v18, 0xbf737871, v23 :: v_dual_sub_f32 v11, v111, v110
	v_sub_f32_e32 v19, v114, v115
	v_add_f32_e32 v20, v73, v75
	s_delay_alu instid0(VALU_DEP_4) | instskip(SKIP_4) | instid1(VALU_DEP_4)
	v_fmac_f32_e32 v28, 0x3f167918, v22
	v_fmamk_f32 v3, v121, 0xbf737871, v29
	v_fmac_f32_e32 v29, 0x3f737871, v121
	v_fmac_f32_e32 v18, 0xbf167918, v121
	v_dual_fmac_f32 v2, 0xbf167918, v22 :: v_dual_add_f32 v11, v11, v19
	v_fmac_f32_e32 v3, 0x3f167918, v23
	s_delay_alu instid0(VALU_DEP_4) | instskip(NEXT) | instid1(VALU_DEP_4)
	v_fmac_f32_e32 v29, 0xbf167918, v23
	v_fmac_f32_e32 v18, 0x3e9e377a, v4
	v_sub_f32_e32 v4, v74, v71
	s_delay_alu instid0(VALU_DEP_4) | instskip(NEXT) | instid1(VALU_DEP_4)
	v_dual_add_f32 v10, v112, v113 :: v_dual_fmac_f32 v3, 0x3e9e377a, v11
	v_fmac_f32_e32 v29, 0x3e9e377a, v11
	v_add_f32_e32 v11, v16, v70
	v_mul_u32_u24_e32 v22, 0x258, v36
	s_delay_alu instid0(VALU_DEP_4)
	v_fmac_f32_e32 v2, 0x3e9e377a, v10
	v_fmac_f32_e32 v28, 0x3e9e377a, v10
	v_add_f32_e32 v10, v15, v74
	v_dual_sub_f32 v36, v73, v75 :: v_dual_fmac_f32 v17, 0x3e9e377a, v21
	v_sub_f32_e32 v21, v77, v75
	ds_store_2addr_b64 v38, v[2:3], v[28:29] offset0:30 offset1:45
	v_add_f32_e32 v2, v10, v71
	v_sub_f32_e32 v10, v109, v76
	v_dual_sub_f32 v37, v71, v76 :: v_dual_lshlrev_b32 v28, 3, v37
	s_delay_alu instid0(VALU_DEP_3) | instskip(NEXT) | instid1(VALU_DEP_3)
	v_dual_add_f32 v3, v11, v73 :: v_dual_add_f32 v2, v2, v76
	v_dual_add_f32 v23, v4, v10 :: v_dual_sub_f32 v4, v70, v73
	s_delay_alu instid0(VALU_DEP_2) | instskip(NEXT) | instid1(VALU_DEP_2)
	v_dual_add_f32 v3, v3, v75 :: v_dual_add_f32 v10, v2, v109
	v_add_f32_e32 v29, v4, v21
	v_add3_u32 v4, 0, v22, v28
	s_delay_alu instid0(VALU_DEP_3) | instskip(SKIP_4) | instid1(VALU_DEP_2)
	v_add_f32_e32 v11, v3, v77
	v_fma_f32 v3, -0.5, v20, v16
	v_sub_f32_e32 v28, v74, v109
	v_dual_add_f32 v22, v70, v77 :: v_dual_add_f32 v19, v71, v76
	v_dual_sub_f32 v20, v71, v74 :: v_dual_sub_f32 v21, v76, v109
	v_fmac_f32_e32 v16, -0.5, v22
	s_delay_alu instid0(VALU_DEP_4) | instskip(NEXT) | instid1(VALU_DEP_4)
	v_fmamk_f32 v22, v28, 0x3f737871, v3
	v_fma_f32 v2, -0.5, v19, v15
	s_delay_alu instid0(VALU_DEP_4) | instskip(SKIP_1) | instid1(VALU_DEP_4)
	v_dual_add_f32 v39, v20, v21 :: v_dual_sub_f32 v20, v73, v70
	v_fmac_f32_e32 v3, 0xbf737871, v28
	v_fmac_f32_e32 v22, 0x3f167918, v37
	v_sub_f32_e32 v71, v70, v77
	v_sub_f32_e32 v70, v75, v77
	s_delay_alu instid0(VALU_DEP_1) | instskip(SKIP_3) | instid1(VALU_DEP_4)
	v_dual_fmamk_f32 v21, v71, 0xbf737871, v2 :: v_dual_add_f32 v70, v20, v70
	v_fmamk_f32 v20, v37, 0xbf737871, v16
	v_fmac_f32_e32 v2, 0x3f737871, v71
	v_fmac_f32_e32 v16, 0x3f737871, v37
	;; [unrolled: 1-line block ×3, first 2 shown]
	ds_store_b64 v38, v[17:18] offset:480
	v_dual_fmac_f32 v20, 0x3f167918, v28 :: v_dual_add_f32 v19, v74, v109
	v_fmac_f32_e32 v2, 0x3f167918, v36
	v_fmac_f32_e32 v16, 0xbf167918, v28
	v_add_f32_e32 v18, v51, v69
	s_delay_alu instid0(VALU_DEP_4) | instskip(SKIP_4) | instid1(VALU_DEP_4)
	v_fmac_f32_e32 v20, 0x3e9e377a, v70
	v_fma_f32 v15, -0.5, v19, v15
	v_fmac_f32_e32 v2, 0x3e9e377a, v23
	v_dual_fmac_f32 v21, 0x3e9e377a, v23 :: v_dual_fmac_f32 v22, 0x3e9e377a, v29
	v_fmac_f32_e32 v16, 0x3e9e377a, v70
	v_fmamk_f32 v19, v36, 0x3f737871, v15
	v_fmac_f32_e32 v15, 0xbf737871, v36
	v_sub_f32_e32 v28, v49, v68
	v_add_f32_e32 v38, v26, v42
	v_lshl_add_u32 v109, v58, 3, 0
	v_fmac_f32_e32 v19, 0xbf167918, v71
	v_fmac_f32_e32 v15, 0x3f167918, v71
	s_delay_alu instid0(VALU_DEP_2) | instskip(NEXT) | instid1(VALU_DEP_2)
	v_fmac_f32_e32 v19, 0x3e9e377a, v39
	v_fmac_f32_e32 v15, 0x3e9e377a, v39
	ds_store_2addr_b64 v4, v[10:11], v[21:22] offset1:15
	ds_store_2addr_b64 v4, v[19:20], v[15:16] offset0:30 offset1:45
	v_dual_sub_f32 v22, v51, v69 :: v_dual_sub_f32 v11, v48, v67
	v_dual_add_f32 v17, v49, v68 :: v_dual_sub_f32 v16, v51, v49
	v_dual_sub_f32 v19, v50, v66 :: v_dual_add_f32 v20, v0, v51
	v_sub_f32_e32 v39, v43, v44
	s_delay_alu instid0(VALU_DEP_3)
	v_fma_f32 v10, -0.5, v17, v0
	v_fma_f32 v0, -0.5, v18, v0
	v_sub_f32_e32 v17, v69, v68
	v_sub_f32_e32 v18, v49, v51
	v_add_f32_e32 v23, v48, v67
	v_fmamk_f32 v15, v11, 0xbf737871, v10
	v_fmac_f32_e32 v10, 0x3f737871, v11
	v_dual_add_f32 v16, v16, v17 :: v_dual_fmamk_f32 v17, v19, 0x3f737871, v0
	v_fmac_f32_e32 v0, 0xbf737871, v19
	s_delay_alu instid0(VALU_DEP_2) | instskip(NEXT) | instid1(VALU_DEP_2)
	v_fmac_f32_e32 v17, 0xbf167918, v11
	v_dual_fmac_f32 v0, 0x3f167918, v11 :: v_dual_sub_f32 v21, v68, v69
	v_dual_fmac_f32 v10, 0x3f167918, v19 :: v_dual_add_f32 v11, v20, v49
	s_delay_alu instid0(VALU_DEP_2) | instskip(NEXT) | instid1(VALU_DEP_2)
	v_add_f32_e32 v18, v18, v21
	v_fmac_f32_e32 v10, 0x3e9e377a, v16
	s_delay_alu instid0(VALU_DEP_3) | instskip(SKIP_1) | instid1(VALU_DEP_4)
	v_add_f32_e32 v11, v11, v68
	v_add_f32_e32 v21, v50, v66
	v_fmac_f32_e32 v17, 0x3e9e377a, v18
	v_fmac_f32_e32 v0, 0x3e9e377a, v18
	v_dual_sub_f32 v18, v48, v50 :: v_dual_fmac_f32 v15, 0xbf167918, v19
	v_add_f32_e32 v19, v1, v48
	s_delay_alu instid0(VALU_DEP_2) | instskip(NEXT) | instid1(VALU_DEP_2)
	v_fmac_f32_e32 v15, 0x3e9e377a, v16
	v_add_f32_e32 v19, v19, v50
	s_delay_alu instid0(VALU_DEP_1) | instskip(SKIP_3) | instid1(VALU_DEP_4)
	v_dual_add_f32 v16, v19, v66 :: v_dual_fmac_f32 v3, 0xbf167918, v37
	v_sub_f32_e32 v37, v40, v45
	v_add_f32_e32 v19, v11, v69
	v_fma_f32 v11, -0.5, v21, v1
	v_dual_add_f32 v20, v16, v67 :: v_dual_fmac_f32 v3, 0x3e9e377a, v29
	v_sub_f32_e32 v21, v67, v66
	v_fmac_f32_e32 v1, -0.5, v23
	v_sub_f32_e32 v23, v50, v48
	v_sub_f32_e32 v29, v66, v67
	v_fmamk_f32 v16, v22, 0x3f737871, v11
	v_dual_sub_f32 v48, v46, v47 :: v_dual_fmac_f32 v11, 0xbf737871, v22
	s_delay_alu instid0(VALU_DEP_3) | instskip(SKIP_1) | instid1(VALU_DEP_4)
	v_add_f32_e32 v23, v23, v29
	v_dual_add_f32 v21, v18, v21 :: v_dual_fmamk_f32 v18, v28, 0xbf737871, v1
	v_fmac_f32_e32 v16, 0x3f167918, v28
	s_delay_alu instid0(VALU_DEP_4) | instskip(SKIP_1) | instid1(VALU_DEP_4)
	v_fmac_f32_e32 v11, 0xbf167918, v28
	v_dual_fmac_f32 v1, 0x3f737871, v28 :: v_dual_sub_f32 v28, v42, v41
	v_fmac_f32_e32 v18, 0x3f167918, v22
	v_sub_f32_e32 v29, v47, v46
	s_delay_alu instid0(VALU_DEP_3) | instskip(NEXT) | instid1(VALU_DEP_3)
	v_dual_fmac_f32 v1, 0xbf167918, v22 :: v_dual_add_f32 v22, v42, v47
	v_fmac_f32_e32 v18, 0x3e9e377a, v23
	v_fmac_f32_e32 v16, 0x3e9e377a, v21
	;; [unrolled: 1-line block ×3, first 2 shown]
	v_add_f32_e32 v29, v28, v29
	v_add_f32_e32 v21, v41, v46
	v_fmac_f32_e32 v1, 0x3e9e377a, v23
	ds_store_b64 v4, v[2:3] offset:480
	v_mul_u32_u24_e32 v3, 0x258, v31
	v_fma_f32 v21, -0.5, v21, v26
	v_fma_f32 v26, -0.5, v22, v26
	v_sub_f32_e32 v22, v41, v42
	s_delay_alu instid0(VALU_DEP_3) | instskip(NEXT) | instid1(VALU_DEP_3)
	v_fmamk_f32 v28, v37, 0xbf737871, v21
	v_dual_fmac_f32 v21, 0x3f737871, v37 :: v_dual_fmamk_f32 v36, v39, 0x3f737871, v26
	v_fmac_f32_e32 v26, 0xbf737871, v39
	s_delay_alu instid0(VALU_DEP_4) | instskip(NEXT) | instid1(VALU_DEP_4)
	v_add_f32_e32 v22, v22, v48
	v_fmac_f32_e32 v28, 0xbf167918, v39
	s_delay_alu instid0(VALU_DEP_4) | instskip(SKIP_4) | instid1(VALU_DEP_4)
	v_fmac_f32_e32 v21, 0x3f167918, v39
	v_dual_add_f32 v39, v27, v40 :: v_dual_fmac_f32 v36, 0xbf167918, v37
	v_fmac_f32_e32 v26, 0x3f167918, v37
	v_add_f32_e32 v37, v38, v41
	v_dual_sub_f32 v41, v41, v46 :: v_dual_fmac_f32 v28, 0x3e9e377a, v29
	v_fmac_f32_e32 v36, 0x3e9e377a, v22
	s_delay_alu instid0(VALU_DEP_4) | instskip(NEXT) | instid1(VALU_DEP_4)
	v_fmac_f32_e32 v26, 0x3e9e377a, v22
	v_dual_add_f32 v23, v37, v46 :: v_dual_add_f32 v46, v24, v13
	v_dual_add_f32 v38, v39, v43 :: v_dual_fmac_f32 v21, 0x3e9e377a, v29
	v_add_f32_e32 v37, v43, v44
	v_sub_f32_e32 v48, v7, v9
	s_delay_alu instid0(VALU_DEP_4) | instskip(NEXT) | instid1(VALU_DEP_4)
	v_add_f32_e32 v46, v46, v14
	v_dual_add_f32 v29, v38, v44 :: v_dual_add_f32 v38, v23, v47
	v_sub_f32_e32 v23, v42, v47
	v_add_f32_e32 v47, v40, v45
	v_fma_f32 v22, -0.5, v37, v27
	v_dual_sub_f32 v37, v40, v43 :: v_dual_sub_f32 v42, v45, v44
	v_add_f32_e32 v39, v29, v45
	s_delay_alu instid0(VALU_DEP_4) | instskip(NEXT) | instid1(VALU_DEP_4)
	v_fmac_f32_e32 v27, -0.5, v47
	v_fmamk_f32 v29, v23, 0x3f737871, v22
	v_fmac_f32_e32 v22, 0xbf737871, v23
	v_add_f32_e32 v42, v37, v42
	v_dual_sub_f32 v40, v43, v40 :: v_dual_sub_f32 v43, v44, v45
	v_fmamk_f32 v37, v41, 0xbf737871, v27
	v_fmac_f32_e32 v27, 0x3f737871, v41
	v_fmac_f32_e32 v29, 0x3f167918, v41
	s_delay_alu instid0(VALU_DEP_4) | instskip(NEXT) | instid1(VALU_DEP_4)
	v_dual_fmac_f32 v22, 0xbf167918, v41 :: v_dual_add_f32 v41, v40, v43
	v_fmac_f32_e32 v37, 0x3f167918, v23
	v_add_f32_e32 v40, v14, v7
	v_fmac_f32_e32 v27, 0xbf167918, v23
	v_add_f32_e32 v23, v13, v9
	v_fmac_f32_e32 v29, 0x3e9e377a, v42
	v_fmac_f32_e32 v22, 0x3e9e377a, v42
	v_sub_f32_e32 v42, v13, v14
	v_sub_f32_e32 v43, v9, v7
	v_fma_f32 v40, -0.5, v40, v24
	v_sub_f32_e32 v45, v12, v8
	v_fma_f32 v24, -0.5, v23, v24
	v_sub_f32_e32 v23, v5, v6
	v_add_f32_e32 v43, v42, v43
	s_delay_alu instid0(VALU_DEP_4) | instskip(SKIP_1) | instid1(VALU_DEP_4)
	v_dual_sub_f32 v47, v14, v13 :: v_dual_fmamk_f32 v42, v45, 0xbf737871, v40
	v_fmac_f32_e32 v40, 0x3f737871, v45
	v_fmamk_f32 v44, v23, 0x3f737871, v24
	v_fmac_f32_e32 v24, 0xbf737871, v23
	v_fmac_f32_e32 v37, 0x3e9e377a, v41
	;; [unrolled: 1-line block ×3, first 2 shown]
	v_dual_fmac_f32 v40, 0x3f167918, v23 :: v_dual_add_f32 v23, v47, v48
	s_delay_alu instid0(VALU_DEP_4) | instskip(NEXT) | instid1(VALU_DEP_3)
	v_fmac_f32_e32 v24, 0x3f167918, v45
	v_dual_fmac_f32 v27, 0x3e9e377a, v41 :: v_dual_fmac_f32 v42, 0x3e9e377a, v43
	s_delay_alu instid0(VALU_DEP_3) | instskip(SKIP_1) | instid1(VALU_DEP_4)
	v_fmac_f32_e32 v40, 0x3e9e377a, v43
	v_add_f32_e32 v43, v46, v7
	v_fmac_f32_e32 v24, 0x3e9e377a, v23
	v_dual_fmac_f32 v44, 0xbf167918, v45 :: v_dual_add_f32 v45, v25, v12
	s_delay_alu instid0(VALU_DEP_3) | instskip(SKIP_2) | instid1(VALU_DEP_4)
	v_dual_sub_f32 v7, v14, v7 :: v_dual_add_f32 v46, v43, v9
	v_sub_f32_e32 v9, v13, v9
	v_add_f32_e32 v13, v12, v8
	v_add_f32_e32 v41, v45, v5
	v_dual_add_f32 v45, v5, v6 :: v_dual_fmac_f32 v44, 0x3e9e377a, v23
	v_sub_f32_e32 v43, v12, v5
	v_sub_f32_e32 v5, v5, v12
	s_delay_alu instid0(VALU_DEP_4) | instskip(NEXT) | instid1(VALU_DEP_4)
	v_add_f32_e32 v23, v41, v6
	v_fma_f32 v41, -0.5, v45, v25
	v_sub_f32_e32 v45, v8, v6
	v_dual_fmac_f32 v25, -0.5, v13 :: v_dual_sub_f32 v6, v6, v8
	s_delay_alu instid0(VALU_DEP_4) | instskip(NEXT) | instid1(VALU_DEP_3)
	v_dual_add_f32 v47, v23, v8 :: v_dual_lshlrev_b32 v8, 3, v33
	v_add_f32_e32 v14, v43, v45
	s_delay_alu instid0(VALU_DEP_3)
	v_fmamk_f32 v45, v7, 0xbf737871, v25
	v_fmac_f32_e32 v25, 0x3f737871, v7
	v_add_f32_e32 v5, v5, v6
	v_mul_u32_u24_e32 v6, 0xb4e9, v65
	v_fmamk_f32 v43, v9, 0x3f737871, v41
	v_fmac_f32_e32 v41, 0xbf737871, v9
	v_fmac_f32_e32 v45, 0x3f167918, v9
	;; [unrolled: 1-line block ×3, first 2 shown]
	v_lshrrev_b32_e32 v6, 16, v6
	v_fmac_f32_e32 v43, 0x3f167918, v7
	v_fmac_f32_e32 v41, 0xbf167918, v7
	;; [unrolled: 1-line block ×3, first 2 shown]
	v_mul_u32_u24_e32 v7, 0x258, v30
	v_fmac_f32_e32 v25, 0x3e9e377a, v5
	v_sub_nc_u16 v5, v63, v6
	v_mul_lo_u16 v9, 0xdb, v64
	v_fmac_f32_e32 v43, 0x3e9e377a, v14
	v_add3_u32 v2, 0, v7, v8
	ds_store_2addr_b64 v2, v[19:20], v[15:16] offset1:15
	ds_store_2addr_b64 v2, v[17:18], v[0:1] offset0:30 offset1:45
	v_lshrrev_b16 v4, 1, v5
	v_lshrrev_b16 v112, 14, v9
	v_lshlrev_b32_e32 v5, 3, v32
	v_fmac_f32_e32 v41, 0x3e9e377a, v14
	v_mov_b32_e32 v65, 0
	v_add_nc_u16 v0, v4, v6
	v_mul_lo_u16 v1, 0x4b, v112
	v_add3_u32 v3, 0, v3, v5
	ds_store_b64 v2, v[10:11] offset:480
	ds_store_2addr_b64 v3, v[38:39], v[28:29] offset1:15
	v_lshrrev_b16 v110, 6, v0
	v_sub_nc_u16 v0, v56, v1
	v_mul_u32_u24_e32 v4, 0x258, v34
	v_lshlrev_b32_e32 v5, 3, v35
	s_delay_alu instid0(VALU_DEP_4) | instskip(NEXT) | instid1(VALU_DEP_4)
	v_mul_lo_u16 v2, 0x4b, v110
	v_and_b32_e32 v113, 0xff, v0
	s_delay_alu instid0(VALU_DEP_3)
	v_add3_u32 v1, 0, v4, v5
	ds_store_2addr_b64 v3, v[36:37], v[26:27] offset0:30 offset1:45
	ds_store_b64 v3, v[21:22] offset:480
	ds_store_2addr_b64 v1, v[46:47], v[42:43] offset1:15
	v_sub_nc_u16 v0, v63, v2
	v_mul_u32_u24_e32 v2, 9, v113
	ds_store_2addr_b64 v1, v[44:45], v[24:25] offset0:30 offset1:45
	ds_store_b64 v1, v[40:41] offset:480
	global_wb scope:SCOPE_SE
	s_wait_dscnt 0x0
	s_barrier_signal -1
	v_and_b32_e32 v111, 0xffff, v0
	v_add_nc_u32_e32 v0, 0xffffffb5, v52
	v_lshlrev_b32_e32 v46, 3, v2
	s_barrier_wait -1
	global_inv scope:SCOPE_SE
	s_wait_alu 0xf1ff
	v_cndmask_b32_e64 v117, v0, v52, s0
	v_mul_u32_u24_e32 v0, 9, v111
	global_load_b128 v[118:121], v46, s[4:5] offset:576
	v_mul_i32_i24_e32 v64, 9, v117
	v_lshlrev_b32_e32 v47, 3, v0
	s_delay_alu instid0(VALU_DEP_2)
	v_lshlrev_b64_e32 v[0:1], 3, v[64:65]
	global_load_b128 v[12:15], v47, s[4:5] offset:576
	v_add_co_u32 v44, s0, s4, v0
	s_wait_alu 0xf1ff
	v_add_co_ci_u32_e64 v45, s0, s5, v1, s0
	s_clause 0xc
	global_load_b128 v[8:11], v[44:45], off offset:576
	global_load_b128 v[4:7], v[44:45], off offset:592
	global_load_b128 v[0:3], v46, s[4:5] offset:592
	global_load_b128 v[16:19], v47, s[4:5] offset:592
	global_load_b128 v[20:23], v[44:45], off offset:608
	global_load_b128 v[24:27], v46, s[4:5] offset:608
	global_load_b128 v[28:31], v47, s[4:5] offset:608
	;; [unrolled: 3-line block ×3, first 2 shown]
	global_load_b64 v[66:67], v[44:45], off offset:640
	global_load_b64 v[68:69], v46, s[4:5] offset:640
	global_load_b64 v[70:71], v47, s[4:5] offset:640
	ds_load_2addr_b64 v[122:125], v72 offset0:116 offset1:241
	ds_load_2addr_b64 v[48:51], v87 offset0:107 offset1:232
	ds_load_b64 v[74:75], v84
	ds_load_b64 v[72:73], v99
	ds_load_2addr_b32 v[76:77], v109 offset1:1
	ds_load_2addr_b64 v[126:129], v94 offset0:80 offset1:205
	v_cmp_lt_u32_e64 s0, 0x4a, v52
	s_wait_loadcnt_dscnt 0xe04
	v_dual_mul_f32 v114, v49, v121 :: v_dual_mul_f32 v115, v123, v119
	v_dual_mul_f32 v44, v122, v119 :: v_dual_mul_f32 v119, v48, v121
	s_delay_alu instid0(VALU_DEP_2) | instskip(NEXT) | instid1(VALU_DEP_2)
	v_dual_fmac_f32 v114, v48, v120 :: v_dual_fmac_f32 v115, v122, v118
	v_fma_f32 v116, v123, v118, -v44
	ds_load_2addr_b64 v[44:47], v108 offset0:92 offset1:217
	s_wait_loadcnt 0xd
	v_mul_f32_e32 v64, v125, v13
	v_dual_mul_f32 v13, v124, v13 :: v_dual_mul_f32 v48, v51, v15
	v_fma_f32 v108, v49, v120, -v119
	s_delay_alu instid0(VALU_DEP_3) | instskip(NEXT) | instid1(VALU_DEP_3)
	v_dual_mul_f32 v15, v50, v15 :: v_dual_fmac_f32 v64, v124, v12
	v_fma_f32 v49, v125, v12, -v13
	s_delay_alu instid0(VALU_DEP_4)
	v_fmac_f32_e32 v48, v50, v14
	ds_load_b64 v[12:13], v83
	s_wait_loadcnt_dscnt 0xc05
	v_mul_f32_e32 v50, v9, v75
	ds_load_2addr_b64 v[118:121], v93 offset0:98 offset1:223
	s_wait_dscnt 0x5
	v_dual_mul_f32 v93, v9, v74 :: v_dual_mul_f32 v130, v11, v73
	v_mul_f32_e32 v11, v11, v72
	v_fma_f32 v9, v51, v14, -v15
	v_fmac_f32_e32 v50, v8, v74
	s_delay_alu instid0(VALU_DEP_4)
	v_fma_f32 v51, v8, v75, -v93
	v_fmac_f32_e32 v130, v10, v72
	ds_load_2addr_b64 v[122:125], v95 offset0:86 offset1:211
	v_fma_f32 v95, v10, v73, -v11
	ds_load_2addr_b64 v[72:75], v103 offset0:74 offset1:199
	s_wait_loadcnt_dscnt 0xb06
	v_mul_f32_e32 v93, v77, v5
	v_mul_f32_e32 v5, v5, v76
	s_wait_dscnt 0x4
	v_mul_f32_e32 v131, v45, v7
	v_mul_f32_e32 v7, v44, v7
	s_delay_alu instid0(VALU_DEP_2)
	v_fmac_f32_e32 v131, v44, v6
	v_fmac_f32_e32 v93, v4, v76
	v_fma_f32 v76, v77, v4, -v5
	s_wait_loadcnt_dscnt 0xa02
	v_mul_f32_e32 v132, v119, v1
	v_mul_f32_e32 v4, v46, v3
	v_fma_f32 v45, v45, v6, -v7
	s_wait_loadcnt 0x6
	v_mul_f32_e32 v6, v129, v29
	v_fmac_f32_e32 v132, v118, v0
	v_fma_f32 v44, v47, v2, -v4
	s_wait_dscnt 0x1
	s_delay_alu instid0(VALU_DEP_3) | instskip(SKIP_2) | instid1(VALU_DEP_1)
	v_dual_mul_f32 v5, v123, v19 :: v_dual_fmac_f32 v6, v128, v28
	s_wait_dscnt 0x0
	v_mul_f32_e32 v94, v73, v23
	v_dual_mul_f32 v103, v75, v27 :: v_dual_fmac_f32 v94, v72, v22
	v_mul_f32_e32 v77, v47, v3
	v_mul_f32_e32 v1, v118, v1
	v_mul_f32_e32 v3, v121, v17
	v_mul_f32_e32 v47, v125, v21
	v_fmac_f32_e32 v103, v74, v26
	v_fmac_f32_e32 v77, v46, v2
	v_fma_f32 v46, v119, v0, -v1
	v_mul_f32_e32 v0, v120, v17
	v_fmac_f32_e32 v3, v120, v16
	v_mul_f32_e32 v1, v122, v19
	v_fmac_f32_e32 v47, v124, v20
	v_fmac_f32_e32 v5, v122, v18
	v_fma_f32 v4, v121, v16, -v0
	v_mul_f32_e32 v0, v124, v21
	ds_load_2addr_b64 v[14:17], v89 offset0:68 offset1:193
	v_fma_f32 v2, v123, v18, -v1
	v_mul_f32_e32 v1, v74, v27
	v_fma_f32 v89, v125, v20, -v0
	ds_load_2addr_b64 v[18:21], v92 offset0:56 offset1:181
	v_mul_f32_e32 v0, v72, v23
	v_fma_f32 v118, v75, v26, -v1
	v_mul_f32_e32 v1, v128, v29
	s_delay_alu instid0(VALU_DEP_3)
	v_fma_f32 v92, v73, v22, -v0
	v_mul_f32_e32 v0, v126, v25
	ds_load_2addr_b64 v[72:75], v90 offset0:62 offset1:187
	v_fma_f32 v8, v129, v28, -v1
	ds_load_2addr_b64 v[26:29], v98 offset0:44 offset1:169
	v_fma_f32 v90, v127, v24, -v0
	s_wait_dscnt 0x3
	v_mul_f32_e32 v0, v14, v31
	v_mul_f32_e32 v11, v15, v31
	s_wait_loadcnt 0x5
	v_mul_f32_e32 v31, v17, v33
	v_mul_f32_e32 v1, v16, v33
	v_fma_f32 v7, v15, v30, -v0
	s_wait_dscnt 0x2
	v_mul_f32_e32 v0, v18, v35
	v_fmac_f32_e32 v11, v14, v30
	v_fmac_f32_e32 v31, v16, v32
	v_fma_f32 v30, v17, v32, -v1
	v_mul_f32_e32 v33, v19, v35
	v_fma_f32 v32, v19, v34, -v0
	v_mul_f32_e32 v119, v127, v25
	s_wait_loadcnt 0x4
	v_mul_f32_e32 v35, v21, v39
	v_mul_f32_e32 v1, v20, v39
	s_wait_dscnt 0x1
	v_mul_f32_e32 v39, v73, v37
	v_dual_mul_f32 v0, v72, v37 :: v_dual_fmac_f32 v119, v126, v24
	ds_load_2addr_b64 v[22:25], v91 offset0:50 offset1:175
	s_wait_loadcnt 0x3
	v_dual_mul_f32 v14, v75, v41 :: v_dual_fmac_f32 v39, v72, v36
	v_fma_f32 v36, v73, v36, -v0
	v_mul_f32_e32 v0, v74, v41
	v_fmac_f32_e32 v33, v18, v34
	v_fma_f32 v34, v21, v38, -v1
	v_fmac_f32_e32 v14, v74, v40
	s_wait_loadcnt_dscnt 0x1
	v_mul_f32_e32 v10, v28, v71
	v_fma_f32 v17, v75, v40, -v0
	v_dual_fmac_f32 v35, v20, v38 :: v_dual_mul_f32 v16, v29, v71
	v_sub_f32_e32 v20, v33, v94
	s_delay_alu instid0(VALU_DEP_4)
	v_fma_f32 v19, v29, v70, -v10
	v_sub_f32_e32 v10, v130, v131
	v_sub_f32_e32 v98, v130, v33
	v_mul_f32_e32 v38, v27, v69
	v_fmac_f32_e32 v16, v28, v70
	v_sub_f32_e32 v74, v95, v32
	v_add_f32_e32 v70, v10, v20
	s_wait_dscnt 0x0
	v_mul_f32_e32 v0, v24, v67
	v_mul_f32_e32 v37, v25, v67
	;; [unrolled: 1-line block ×3, first 2 shown]
	v_fmac_f32_e32 v38, v26, v68
	s_delay_alu instid0(VALU_DEP_4) | instskip(SKIP_3) | instid1(VALU_DEP_3)
	v_fma_f32 v40, v25, v66, -v0
	v_dual_mul_f32 v1, v22, v43 :: v_dual_add_f32 v0, v89, v30
	v_fmac_f32_e32 v37, v24, v66
	v_dual_add_f32 v21, v47, v31 :: v_dual_fmac_f32 v18, v22, v42
	v_fma_f32 v15, v23, v42, -v1
	v_mul_f32_e32 v1, v26, v69
	v_fma_f32 v24, -0.5, v0, v51
	v_sub_f32_e32 v25, v76, v89
	v_dual_sub_f32 v26, v40, v30 :: v_dual_sub_f32 v43, v47, v31
	s_delay_alu instid0(VALU_DEP_4)
	v_fma_f32 v41, v27, v68, -v1
	ds_load_b64 v[0:1], v78
	v_fma_f32 v27, -0.5, v21, v50
	ds_load_b64 v[20:21], v82
	v_dual_add_f32 v26, v25, v26 :: v_dual_sub_f32 v25, v95, v45
	v_sub_f32_e32 v68, v32, v92
	v_sub_f32_e32 v29, v76, v40
	global_wb scope:SCOPE_SE
	s_wait_dscnt 0x0
	s_barrier_signal -1
	s_barrier_wait -1
	v_add_f32_e32 v68, v25, v68
	v_dual_add_f32 v25, v51, v76 :: v_dual_fmamk_f32 v66, v29, 0xbf737871, v27
	global_inv scope:SCOPE_SE
	v_dual_add_f32 v25, v25, v89 :: v_dual_add_f32 v10, v0, v130
	s_delay_alu instid0(VALU_DEP_1) | instskip(SKIP_3) | instid1(VALU_DEP_4)
	v_dual_add_f32 v25, v25, v30 :: v_dual_add_f32 v10, v10, v131
	v_sub_f32_e32 v28, v93, v37
	v_sub_f32_e32 v22, v93, v47
	v_dual_sub_f32 v67, v89, v30 :: v_dual_sub_f32 v30, v30, v40
	v_add_f32_e32 v124, v25, v40
	s_delay_alu instid0(VALU_DEP_4) | instskip(SKIP_1) | instid1(VALU_DEP_4)
	v_fmamk_f32 v42, v28, 0x3f737871, v24
	v_fmac_f32_e32 v24, 0xbf737871, v28
	v_fmac_f32_e32 v66, 0xbf167918, v67
	v_add_f32_e32 v10, v10, v94
	s_delay_alu instid0(VALU_DEP_4) | instskip(NEXT) | instid1(VALU_DEP_4)
	v_fmac_f32_e32 v42, 0x3f167918, v43
	v_fmac_f32_e32 v24, 0xbf167918, v43
	s_delay_alu instid0(VALU_DEP_2) | instskip(NEXT) | instid1(VALU_DEP_2)
	v_fmac_f32_e32 v42, 0x3e9e377a, v26
	v_fmac_f32_e32 v24, 0x3e9e377a, v26
	s_delay_alu instid0(VALU_DEP_2) | instskip(SKIP_1) | instid1(VALU_DEP_3)
	v_dual_mul_f32 v26, 0xbf167918, v42 :: v_dual_sub_f32 v23, v37, v31
	v_mul_f32_e32 v42, 0x3f4f1bbd, v42
	v_mul_f32_e32 v71, 0xbf167918, v24
	;; [unrolled: 1-line block ×3, first 2 shown]
	s_delay_alu instid0(VALU_DEP_4) | instskip(SKIP_1) | instid1(VALU_DEP_2)
	v_dual_add_f32 v24, v45, v92 :: v_dual_add_f32 v69, v22, v23
	v_lshlrev_b32_e32 v23, 3, v117
	v_fma_f32 v91, -0.5, v24, v1
	s_delay_alu instid0(VALU_DEP_3) | instskip(SKIP_1) | instid1(VALU_DEP_3)
	v_fmac_f32_e32 v66, 0x3e9e377a, v69
	v_add_f32_e32 v24, v50, v93
	v_fmamk_f32 v120, v98, 0x3f737871, v91
	s_delay_alu instid0(VALU_DEP_3) | instskip(SKIP_3) | instid1(VALU_DEP_1)
	v_fmac_f32_e32 v26, 0x3f4f1bbd, v66
	v_fmac_f32_e32 v42, 0x3f167918, v66
	v_dual_add_f32 v66, v76, v40 :: v_dual_fmac_f32 v91, 0xbf737871, v98
	v_dual_add_f32 v24, v24, v47 :: v_dual_sub_f32 v47, v47, v93
	v_dual_fmac_f32 v51, -0.5, v66 :: v_dual_add_f32 v24, v24, v31
	s_delay_alu instid0(VALU_DEP_1) | instskip(SKIP_1) | instid1(VALU_DEP_1)
	v_fmamk_f32 v40, v43, 0xbf737871, v51
	v_fmac_f32_e32 v27, 0x3f737871, v29
	v_dual_fmac_f32 v40, 0x3f167918, v28 :: v_dual_fmac_f32 v27, 0x3f167918, v67
	s_delay_alu instid0(VALU_DEP_1) | instskip(NEXT) | instid1(VALU_DEP_1)
	v_fmac_f32_e32 v27, 0x3e9e377a, v69
	v_dual_fmac_f32 v72, 0x3f167918, v27 :: v_dual_sub_f32 v121, v131, v94
	v_dual_add_f32 v22, v131, v94 :: v_dual_fmac_f32 v71, 0xbf4f1bbd, v27
	s_delay_alu instid0(VALU_DEP_2) | instskip(SKIP_1) | instid1(VALU_DEP_3)
	v_fmac_f32_e32 v91, 0xbf167918, v121
	v_fmac_f32_e32 v120, 0x3f167918, v121
	v_fma_f32 v73, -0.5, v22, v0
	s_wait_alu 0xf1ff
	v_cndmask_b32_e64 v22, 0, 0x1770, s0
	v_fmac_f32_e32 v91, 0x3e9e377a, v68
	v_fmac_f32_e32 v120, 0x3e9e377a, v68
	v_sub_f32_e32 v66, v94, v33
	v_add_f32_e32 v68, v93, v37
	v_add_f32_e32 v123, v24, v37
	s_delay_alu instid0(VALU_DEP_2) | instskip(SKIP_2) | instid1(VALU_DEP_3)
	v_dual_sub_f32 v31, v31, v37 :: v_dual_fmac_f32 v50, -0.5, v68
	v_dual_add_f32 v27, v10, v33 :: v_dual_add_f32 v10, v1, v95
	v_add_f32_e32 v33, v130, v33
	v_add_f32_e32 v31, v47, v31
	s_delay_alu instid0(VALU_DEP_4) | instskip(SKIP_3) | instid1(VALU_DEP_4)
	v_fmamk_f32 v37, v67, 0x3f737871, v50
	v_fmac_f32_e32 v50, 0xbf737871, v67
	v_add_f32_e32 v10, v10, v45
	v_fma_f32 v0, -0.5, v33, v0
	v_dual_sub_f32 v24, v27, v123 :: v_dual_fmac_f32 v37, 0xbf167918, v29
	v_add_f32_e32 v47, v95, v32
	s_delay_alu instid0(VALU_DEP_4) | instskip(SKIP_1) | instid1(VALU_DEP_4)
	v_add_f32_e32 v10, v10, v92
	v_fmac_f32_e32 v50, 0x3f167918, v29
	v_fmac_f32_e32 v37, 0x3e9e377a, v31
	v_sub_f32_e32 v117, v45, v92
	v_fmamk_f32 v75, v74, 0xbf737871, v73
	v_dual_fmac_f32 v73, 0x3f737871, v74 :: v_dual_add_f32 v122, v10, v32
	v_add3_u32 v10, 0, v22, v23
	v_add_f32_e32 v23, v91, v72
	s_delay_alu instid0(VALU_DEP_3) | instskip(NEXT) | instid1(VALU_DEP_4)
	v_dual_sub_f32 v32, v92, v32 :: v_dual_fmac_f32 v73, 0x3f167918, v117
	v_sub_f32_e32 v25, v122, v124
	s_delay_alu instid0(VALU_DEP_4) | instskip(SKIP_1) | instid1(VALU_DEP_4)
	v_add_nc_u32_e32 v69, 0x800, v10
	v_dual_sub_f32 v92, v108, v34 :: v_dual_fmac_f32 v1, -0.5, v47
	v_dual_fmac_f32 v73, 0x3e9e377a, v70 :: v_dual_fmac_f32 v50, 0x3e9e377a, v31
	s_delay_alu instid0(VALU_DEP_1)
	v_add_f32_e32 v22, v73, v71
	ds_store_2addr_b64 v69, v[22:23], v[24:25] offset0:44 offset1:119
	v_dual_sub_f32 v69, v89, v76 :: v_dual_add_f32 v22, v27, v123
	v_sub_f32_e32 v25, v120, v42
	v_add_f32_e32 v27, v120, v42
	v_sub_f32_e32 v42, v131, v130
	s_delay_alu instid0(VALU_DEP_4) | instskip(SKIP_2) | instid1(VALU_DEP_4)
	v_dual_add_f32 v30, v69, v30 :: v_dual_fmac_f32 v51, 0x3f737871, v43
	v_sub_f32_e32 v94, v114, v35
	v_sub_f32_e32 v69, v46, v41
	v_add_f32_e32 v42, v42, v66
	s_delay_alu instid0(VALU_DEP_4) | instskip(SKIP_1) | instid1(VALU_DEP_2)
	v_fmac_f32_e32 v40, 0x3e9e377a, v30
	v_fmac_f32_e32 v51, 0xbf167918, v28
	v_mul_f32_e32 v66, 0xbf737871, v40
	s_delay_alu instid0(VALU_DEP_2) | instskip(NEXT) | instid1(VALU_DEP_2)
	v_dual_mul_f32 v40, 0x3e9e377a, v40 :: v_dual_fmac_f32 v51, 0x3e9e377a, v30
	v_fmac_f32_e32 v66, 0x3e9e377a, v37
	v_fmamk_f32 v33, v117, 0x3f737871, v0
	v_fmac_f32_e32 v0, 0xbf737871, v117
	s_delay_alu instid0(VALU_DEP_4)
	v_fmac_f32_e32 v40, 0x3f737871, v37
	v_fmamk_f32 v37, v121, 0xbf737871, v1
	v_fmac_f32_e32 v75, 0xbf167918, v117
	v_fmac_f32_e32 v33, 0xbf167918, v74
	;; [unrolled: 1-line block ×3, first 2 shown]
	v_dual_sub_f32 v74, v44, v118 :: v_dual_sub_f32 v45, v45, v95
	v_fmac_f32_e32 v37, 0x3f167918, v98
	s_delay_alu instid0(VALU_DEP_4) | instskip(NEXT) | instid1(VALU_DEP_4)
	v_fmac_f32_e32 v33, 0x3e9e377a, v42
	v_fmac_f32_e32 v0, 0x3e9e377a, v42
	v_mul_f32_e32 v42, 0xbf737871, v51
	v_dual_add_f32 v32, v45, v32 :: v_dual_mul_f32 v43, 0xbe9e377a, v51
	s_delay_alu instid0(VALU_DEP_4) | instskip(SKIP_1) | instid1(VALU_DEP_3)
	v_dual_add_f32 v30, v33, v66 :: v_dual_fmac_f32 v1, 0x3f737871, v121
	v_fmac_f32_e32 v75, 0x3e9e377a, v70
	v_fmac_f32_e32 v37, 0x3e9e377a, v32
	v_fmac_f32_e32 v42, 0xbe9e377a, v50
	v_fmac_f32_e32 v43, 0x3f737871, v50
	v_fmac_f32_e32 v1, 0xbf167918, v98
	v_sub_f32_e32 v24, v75, v26
	v_sub_f32_e32 v28, v33, v66
	v_add_nc_u32_e32 v45, 0xc00, v10
	v_sub_f32_e32 v47, v119, v39
	v_fmac_f32_e32 v1, 0x3e9e377a, v32
	v_dual_add_f32 v31, v37, v40 :: v_dual_add_f32 v32, v0, v42
	v_dual_sub_f32 v66, v132, v38 :: v_dual_sub_f32 v29, v37, v40
	s_delay_alu instid0(VALU_DEP_3)
	v_add_f32_e32 v33, v1, v43
	v_dual_add_f32 v23, v122, v124 :: v_dual_add_f32 v26, v75, v26
	v_sub_f32_e32 v50, v90, v36
	ds_store_2addr_b64 v45, v[24:25], v[28:29] offset0:66 offset1:141
	ds_store_2addr_b64 v10, v[22:23], v[26:27] offset1:75
	ds_store_2addr_b64 v10, v[30:31], v[32:33] offset0:150 offset1:225
	v_add_f32_e32 v30, v21, v108
	v_dual_add_f32 v24, v44, v118 :: v_dual_add_f32 v33, v77, v103
	v_sub_f32_e32 v0, v0, v42
	v_sub_f32_e32 v22, v77, v114
	s_delay_alu instid0(VALU_DEP_4) | instskip(NEXT) | instid1(VALU_DEP_4)
	v_dual_add_f32 v30, v30, v44 :: v_dual_sub_f32 v23, v103, v35
	v_fma_f32 v42, -0.5, v33, v20
	v_add_f32_e32 v29, v116, v46
	v_sub_f32_e32 v26, v36, v41
	s_delay_alu instid0(VALU_DEP_4)
	v_dual_add_f32 v30, v30, v118 :: v_dual_sub_f32 v1, v1, v43
	v_fma_f32 v43, -0.5, v24, v21
	v_dual_add_f32 v25, v119, v39 :: v_dual_add_f32 v24, v90, v36
	v_add_f32_e32 v37, v22, v23
	v_add_f32_e32 v23, v132, v38
	;; [unrolled: 1-line block ×3, first 2 shown]
	s_delay_alu instid0(VALU_DEP_4) | instskip(SKIP_4) | instid1(VALU_DEP_4)
	v_fma_f32 v40, -0.5, v25, v115
	v_add_f32_e32 v25, v46, v41
	v_fma_f32 v45, -0.5, v24, v116
	v_dual_add_f32 v28, v115, v132 :: v_dual_fmac_f32 v115, -0.5, v23
	v_sub_f32_e32 v24, v39, v38
	v_dual_fmac_f32 v116, -0.5, v25 :: v_dual_sub_f32 v25, v90, v46
	v_fmac_f32_e32 v21, -0.5, v22
	s_delay_alu instid0(VALU_DEP_4) | instskip(SKIP_1) | instid1(VALU_DEP_4)
	v_fmamk_f32 v68, v50, 0x3f737871, v115
	v_fmac_f32_e32 v115, 0xbf737871, v50
	v_fmamk_f32 v51, v47, 0xbf737871, v116
	v_dual_fmac_f32 v116, 0x3f737871, v47 :: v_dual_add_f32 v67, v25, v26
	v_add_f32_e32 v26, v114, v35
	v_sub_f32_e32 v75, v77, v103
	s_delay_alu instid0(VALU_DEP_3) | instskip(SKIP_1) | instid1(VALU_DEP_4)
	v_dual_sub_f32 v23, v119, v132 :: v_dual_fmac_f32 v116, 0xbf167918, v66
	v_sub_f32_e32 v25, v44, v108
	v_fma_f32 v26, -0.5, v26, v20
	s_delay_alu instid0(VALU_DEP_3) | instskip(SKIP_2) | instid1(VALU_DEP_4)
	v_dual_sub_f32 v27, v118, v34 :: v_dual_add_f32 v70, v23, v24
	v_fmac_f32_e32 v115, 0x3f167918, v69
	v_fmac_f32_e32 v116, 0x3e9e377a, v67
	v_fmamk_f32 v89, v74, 0x3f737871, v26
	v_dual_fmac_f32 v26, 0xbf737871, v74 :: v_dual_fmamk_f32 v93, v75, 0xbf737871, v21
	v_fmac_f32_e32 v21, 0x3f737871, v75
	v_dual_add_f32 v76, v25, v27 :: v_dual_fmac_f32 v115, 0x3e9e377a, v70
	v_mul_f32_e32 v27, 0xbf737871, v116
	v_mul_f32_e32 v31, 0xbe9e377a, v116
	v_fmac_f32_e32 v26, 0x3f167918, v92
	v_fmac_f32_e32 v21, 0xbf167918, v94
	s_delay_alu instid0(VALU_DEP_4) | instskip(NEXT) | instid1(VALU_DEP_4)
	v_dual_add_f32 v32, v20, v114 :: v_dual_fmac_f32 v27, 0xbe9e377a, v115
	v_fmac_f32_e32 v31, 0x3f737871, v115
	s_delay_alu instid0(VALU_DEP_3) | instskip(NEXT) | instid1(VALU_DEP_3)
	v_dual_fmac_f32 v26, 0x3e9e377a, v37 :: v_dual_fmac_f32 v21, 0x3e9e377a, v76
	v_dual_add_f32 v32, v32, v77 :: v_dual_add_f32 v29, v29, v90
	v_sub_f32_e32 v22, v73, v71
	s_delay_alu instid0(VALU_DEP_3) | instskip(NEXT) | instid1(VALU_DEP_4)
	v_add_f32_e32 v24, v26, v27
	v_add_f32_e32 v25, v21, v31
	v_sub_f32_e32 v26, v26, v27
	v_sub_f32_e32 v27, v21, v31
	v_add_f32_e32 v21, v28, v119
	v_add_f32_e32 v28, v32, v103
	v_dual_sub_f32 v32, v132, v119 :: v_dual_add_f32 v29, v29, v36
	v_sub_f32_e32 v36, v41, v36
	s_delay_alu instid0(VALU_DEP_4) | instskip(NEXT) | instid1(VALU_DEP_3)
	v_dual_add_f32 v21, v21, v39 :: v_dual_sub_f32 v20, v114, v77
	v_dual_add_f32 v28, v28, v35 :: v_dual_add_f32 v29, v29, v41
	v_sub_f32_e32 v31, v35, v103
	s_delay_alu instid0(VALU_DEP_3)
	v_add_f32_e32 v33, v21, v38
	v_sub_f32_e32 v21, v38, v39
	v_sub_f32_e32 v35, v46, v90
	v_fmamk_f32 v38, v66, 0x3f737871, v45
	v_add_f32_e32 v30, v30, v34
	v_fmac_f32_e32 v45, 0xbf737871, v66
	v_add_f32_e32 v41, v32, v21
	v_dual_sub_f32 v21, v108, v44 :: v_dual_sub_f32 v32, v34, v118
	v_fmamk_f32 v44, v94, 0x3f737871, v43
	v_fmamk_f32 v34, v92, 0xbf737871, v42
	v_add_f32_e32 v90, v13, v9
	s_delay_alu instid0(VALU_DEP_4) | instskip(NEXT) | instid1(VALU_DEP_4)
	v_dual_sub_f32 v98, v48, v18 :: v_dual_add_f32 v71, v21, v32
	v_fmac_f32_e32 v44, 0x3f167918, v75
	s_delay_alu instid0(VALU_DEP_4) | instskip(SKIP_1) | instid1(VALU_DEP_3)
	v_dual_fmac_f32 v34, 0xbf167918, v74 :: v_dual_add_f32 v21, v30, v29
	v_dual_sub_f32 v29, v30, v29 :: v_dual_fmac_f32 v42, 0x3f737871, v92
	v_fmac_f32_e32 v44, 0x3e9e377a, v71
	v_fmac_f32_e32 v68, 0xbf167918, v69
	v_fmamk_f32 v39, v69, 0xbf737871, v40
	v_dual_fmac_f32 v40, 0x3f737871, v69 :: v_dual_sub_f32 v23, v91, v72
	v_fmac_f32_e32 v42, 0x3f167918, v74
	s_delay_alu instid0(VALU_DEP_4) | instskip(SKIP_1) | instid1(VALU_DEP_4)
	v_fmac_f32_e32 v68, 0x3e9e377a, v70
	v_sub_f32_e32 v70, v17, v19
	v_dual_fmac_f32 v40, 0x3f167918, v50 :: v_dual_add_f32 v35, v35, v36
	v_add_f32_e32 v36, v20, v31
	v_add_f32_e32 v20, v28, v33
	v_fmac_f32_e32 v38, 0x3f167918, v47
	v_fmac_f32_e32 v39, 0xbf167918, v50
	;; [unrolled: 1-line block ×4, first 2 shown]
	v_sub_f32_e32 v28, v28, v33
	s_delay_alu instid0(VALU_DEP_4) | instskip(NEXT) | instid1(VALU_DEP_4)
	v_dual_fmac_f32 v38, 0x3e9e377a, v35 :: v_dual_fmac_f32 v39, 0x3e9e377a, v41
	v_fmac_f32_e32 v45, 0x3e9e377a, v35
	v_fmac_f32_e32 v51, 0x3f167918, v66
	;; [unrolled: 1-line block ×3, first 2 shown]
	s_delay_alu instid0(VALU_DEP_4) | instskip(SKIP_3) | instid1(VALU_DEP_4)
	v_mul_f32_e32 v46, 0xbf167918, v38
	v_mul_f32_e32 v38, 0x3f4f1bbd, v38
	v_mul_f32_e32 v41, 0xbf167918, v45
	v_dual_fmac_f32 v51, 0x3e9e377a, v67 :: v_dual_fmac_f32 v42, 0x3e9e377a, v36
	v_fmac_f32_e32 v46, 0x3f4f1bbd, v39
	s_delay_alu instid0(VALU_DEP_4) | instskip(SKIP_2) | instid1(VALU_DEP_4)
	v_fmac_f32_e32 v38, 0x3f167918, v39
	v_fmac_f32_e32 v43, 0xbf737871, v94
	;; [unrolled: 1-line block ×3, first 2 shown]
	v_dual_sub_f32 v73, v3, v16 :: v_dual_add_f32 v30, v34, v46
	s_delay_alu instid0(VALU_DEP_4) | instskip(SKIP_4) | instid1(VALU_DEP_3)
	v_add_f32_e32 v31, v44, v38
	v_sub_f32_e32 v32, v34, v46
	v_dual_sub_f32 v33, v44, v38 :: v_dual_mul_f32 v44, 0xbf4f1bbd, v45
	v_dual_sub_f32 v45, v5, v48 :: v_dual_sub_f32 v46, v11, v18
	v_dual_mul_f32 v38, 0x3e9e377a, v51 :: v_dual_sub_f32 v69, v6, v14
	v_fmac_f32_e32 v44, 0x3f167918, v40
	v_sub_f32_e32 v40, v42, v41
	s_delay_alu instid0(VALU_DEP_4) | instskip(SKIP_2) | instid1(VALU_DEP_2)
	v_add_f32_e32 v50, v45, v46
	v_dual_add_f32 v46, v64, v3 :: v_dual_fmac_f32 v89, 0xbf167918, v92
	v_fmac_f32_e32 v38, 0x3f737871, v68
	v_dual_add_f32 v45, v3, v16 :: v_dual_add_f32 v46, v46, v6
	s_delay_alu instid0(VALU_DEP_3) | instskip(NEXT) | instid1(VALU_DEP_2)
	v_fmac_f32_e32 v89, 0x3e9e377a, v37
	v_dual_mul_f32 v37, 0xbf737871, v51 :: v_dual_add_f32 v46, v46, v14
	s_delay_alu instid0(VALU_DEP_1) | instskip(SKIP_1) | instid1(VALU_DEP_3)
	v_fmac_f32_e32 v37, 0x3e9e377a, v68
	v_add_f32_e32 v68, v49, v4
	v_dual_add_f32 v46, v46, v16 :: v_dual_fmac_f32 v43, 0xbf167918, v75
	s_delay_alu instid0(VALU_DEP_3) | instskip(SKIP_1) | instid1(VALU_DEP_2)
	v_dual_sub_f32 v36, v89, v37 :: v_dual_fmac_f32 v93, 0x3f167918, v94
	v_dual_add_f32 v34, v89, v37 :: v_dual_sub_f32 v75, v4, v19
	v_dual_fmac_f32 v93, 0x3e9e377a, v76 :: v_dual_add_f32 v76, v48, v18
	s_delay_alu instid0(VALU_DEP_1)
	v_add_f32_e32 v35, v93, v38
	v_dual_sub_f32 v37, v93, v38 :: v_dual_add_f32 v38, v42, v41
	v_add_f32_e32 v41, v6, v14
	v_sub_f32_e32 v93, v9, v15
	v_add_f32_e32 v47, v2, v7
	v_add_f32_e32 v42, v9, v15
	s_delay_alu instid0(VALU_DEP_4) | instskip(SKIP_1) | instid1(VALU_DEP_4)
	v_fma_f32 v66, -0.5, v41, v64
	v_add_f32_e32 v41, v8, v17
	v_fma_f32 v51, -0.5, v47, v13
	v_dual_add_f32 v47, v4, v19 :: v_dual_fmac_f32 v64, -0.5, v45
	s_delay_alu instid0(VALU_DEP_3) | instskip(SKIP_1) | instid1(VALU_DEP_3)
	v_fma_f32 v67, -0.5, v41, v49
	v_sub_f32_e32 v41, v14, v16
	v_fmac_f32_e32 v49, -0.5, v47
	v_sub_f32_e32 v47, v8, v4
	v_sub_f32_e32 v4, v4, v8
	s_delay_alu instid0(VALU_DEP_3) | instskip(NEXT) | instid1(VALU_DEP_3)
	v_fmamk_f32 v72, v69, 0xbf737871, v49
	v_add_f32_e32 v70, v47, v70
	s_delay_alu instid0(VALU_DEP_2) | instskip(SKIP_3) | instid1(VALU_DEP_4)
	v_dual_fmac_f32 v72, 0x3f167918, v73 :: v_dual_sub_f32 v45, v6, v3
	v_sub_f32_e32 v3, v3, v6
	v_sub_f32_e32 v6, v16, v14
	v_fmamk_f32 v14, v75, 0xbf737871, v66
	v_dual_fmac_f32 v72, 0x3e9e377a, v70 :: v_dual_add_f32 v89, v45, v41
	v_fma_f32 v45, -0.5, v76, v12
	v_sub_f32_e32 v76, v2, v7
	s_delay_alu instid0(VALU_DEP_1) | instskip(SKIP_3) | instid1(VALU_DEP_4)
	v_fmamk_f32 v92, v76, 0x3f737871, v45
	v_fmac_f32_e32 v43, 0x3e9e377a, v71
	v_sub_f32_e32 v71, v8, v17
	v_fmac_f32_e32 v45, 0xbf737871, v76
	v_fmac_f32_e32 v92, 0xbf167918, v93
	s_delay_alu instid0(VALU_DEP_3) | instskip(SKIP_1) | instid1(VALU_DEP_3)
	v_dual_sub_f32 v47, v2, v9 :: v_dual_fmamk_f32 v74, v71, 0x3f737871, v64
	v_fmac_f32_e32 v64, 0xbf737871, v71
	v_fmac_f32_e32 v92, 0x3e9e377a, v50
	s_delay_alu instid0(VALU_DEP_3) | instskip(NEXT) | instid1(VALU_DEP_3)
	v_fmac_f32_e32 v74, 0xbf167918, v75
	v_fmac_f32_e32 v64, 0x3f167918, v75
	s_delay_alu instid0(VALU_DEP_2) | instskip(SKIP_1) | instid1(VALU_DEP_3)
	v_fmac_f32_e32 v74, 0x3e9e377a, v89
	v_fmac_f32_e32 v49, 0x3f737871, v69
	v_dual_sub_f32 v77, v7, v15 :: v_dual_fmac_f32 v64, 0x3e9e377a, v89
	s_delay_alu instid0(VALU_DEP_2) | instskip(NEXT) | instid1(VALU_DEP_2)
	v_fmac_f32_e32 v49, 0xbf167918, v73
	v_add_f32_e32 v77, v47, v77
	s_delay_alu instid0(VALU_DEP_2) | instskip(NEXT) | instid1(VALU_DEP_1)
	v_fmac_f32_e32 v49, 0x3e9e377a, v70
	v_mul_f32_e32 v94, 0xbf737871, v49
	s_delay_alu instid0(VALU_DEP_1) | instskip(NEXT) | instid1(VALU_DEP_1)
	v_dual_mul_f32 v47, 0xbe9e377a, v49 :: v_dual_fmac_f32 v94, 0xbe9e377a, v64
	v_fmac_f32_e32 v47, 0x3f737871, v64
	v_add_f32_e32 v64, v68, v8
	v_add_f32_e32 v68, v5, v11
	v_sub_f32_e32 v8, v19, v17
	s_delay_alu instid0(VALU_DEP_3) | instskip(NEXT) | instid1(VALU_DEP_3)
	v_dual_sub_f32 v41, v43, v44 :: v_dual_add_f32 v64, v64, v17
	v_fma_f32 v68, -0.5, v68, v12
	s_delay_alu instid0(VALU_DEP_3) | instskip(SKIP_2) | instid1(VALU_DEP_4)
	v_dual_sub_f32 v91, v5, v11 :: v_dual_add_f32 v16, v4, v8
	v_mul_f32_e32 v8, 0xbf737871, v72
	v_fmac_f32_e32 v14, 0xbf167918, v71
	v_fmamk_f32 v4, v93, 0xbf737871, v68
	v_dual_fmac_f32 v68, 0x3f737871, v93 :: v_dual_add_f32 v39, v43, v44
	v_fmamk_f32 v17, v73, 0x3f737871, v67
	v_fmac_f32_e32 v67, 0xbf737871, v73
	s_delay_alu instid0(VALU_DEP_4) | instskip(NEXT) | instid1(VALU_DEP_4)
	v_fmac_f32_e32 v4, 0xbf167918, v76
	v_fmac_f32_e32 v68, 0x3f167918, v76
	v_add_f32_e32 v49, v12, v48
	v_dual_add_f32 v64, v64, v19 :: v_dual_and_b32 v19, 0xffff, v110
	v_fmac_f32_e32 v8, 0x3e9e377a, v74
	s_delay_alu instid0(VALU_DEP_3) | instskip(SKIP_3) | instid1(VALU_DEP_4)
	v_add_f32_e32 v44, v49, v5
	v_sub_f32_e32 v5, v48, v5
	v_add_f32_e32 v49, v90, v2
	v_sub_f32_e32 v2, v9, v2
	v_dual_add_f32 v9, v3, v6 :: v_dual_add_f32 v44, v44, v11
	v_sub_f32_e32 v11, v18, v11
	s_delay_alu instid0(VALU_DEP_2) | instskip(NEXT) | instid1(VALU_DEP_2)
	v_dual_sub_f32 v3, v15, v7 :: v_dual_fmac_f32 v14, 0x3e9e377a, v9
	v_dual_add_f32 v90, v44, v18 :: v_dual_add_f32 v11, v5, v11
	v_dual_fmamk_f32 v5, v98, 0x3f737871, v51 :: v_dual_lshlrev_b32 v18, 3, v113
	v_fmac_f32_e32 v51, 0xbf737871, v98
	s_delay_alu instid0(VALU_DEP_3) | instskip(NEXT) | instid1(VALU_DEP_4)
	v_add_f32_e32 v12, v90, v46
	v_fmac_f32_e32 v4, 0x3e9e377a, v11
	v_fmac_f32_e32 v17, 0x3f167918, v69
	;; [unrolled: 1-line block ×8, first 2 shown]
	v_and_b32_e32 v16, 0xffff, v112
	v_sub_f32_e32 v46, v90, v46
	s_delay_alu instid0(VALU_DEP_4) | instskip(NEXT) | instid1(VALU_DEP_4)
	v_mul_f32_e32 v6, 0xbf167918, v17
	v_mul_f32_e32 v11, 0xbf4f1bbd, v67
	s_delay_alu instid0(VALU_DEP_4) | instskip(NEXT) | instid1(VALU_DEP_3)
	v_mul_u32_u24_e32 v16, 0x1770, v16
	v_fmac_f32_e32 v6, 0x3f4f1bbd, v14
	s_delay_alu instid0(VALU_DEP_2)
	v_add3_u32 v16, 0, v16, v18
	v_add_nc_u32_e32 v18, 0x1000, v10
	ds_store_2addr_b64 v18, v[0:1], v[22:23] offset0:88 offset1:163
	ds_store_2addr_b64 v16, v[20:21], v[30:31] offset1:75
	v_mul_u32_u24_e32 v0, 0x1770, v19
	v_lshlrev_b32_e32 v1, 3, v111
	v_add_nc_u32_e32 v18, 0xc00, v16
	ds_store_2addr_b64 v16, v[34:35], v[24:25] offset0:150 offset1:225
	v_add3_u32 v0, 0, v0, v1
	v_add_f32_e32 v49, v49, v7
	v_mul_f32_e32 v7, 0x3f4f1bbd, v17
	v_mul_f32_e32 v17, 0xbf167918, v67
	s_delay_alu instid0(VALU_DEP_4) | instskip(NEXT) | instid1(VALU_DEP_4)
	v_add_nc_u32_e32 v1, 0x800, v0
	v_add_f32_e32 v49, v49, v15
	s_delay_alu instid0(VALU_DEP_4) | instskip(SKIP_3) | instid1(VALU_DEP_3)
	v_fmac_f32_e32 v7, 0x3f167918, v14
	v_dual_mul_f32 v14, 0x3e9e377a, v72 :: v_dual_fmac_f32 v13, -0.5, v42
	v_fmac_f32_e32 v66, 0x3f737871, v75
	v_fmac_f32_e32 v45, 0x3f167918, v93
	v_dual_add_f32 v15, v2, v3 :: v_dual_fmac_f32 v14, 0x3f737871, v74
	v_add_f32_e32 v2, v4, v6
	s_delay_alu instid0(VALU_DEP_4) | instskip(NEXT) | instid1(VALU_DEP_4)
	v_fmac_f32_e32 v66, 0x3f167918, v71
	v_fmac_f32_e32 v45, 0x3e9e377a, v50
	s_delay_alu instid0(VALU_DEP_4) | instskip(SKIP_1) | instid1(VALU_DEP_4)
	v_fmac_f32_e32 v5, 0x3e9e377a, v15
	v_dual_fmac_f32 v51, 0x3e9e377a, v15 :: v_dual_sub_f32 v4, v4, v6
	v_fmac_f32_e32 v66, 0x3e9e377a, v9
	s_delay_alu instid0(VALU_DEP_4)
	v_add_f32_e32 v42, v45, v94
	v_sub_f32_e32 v44, v45, v94
	v_add_f32_e32 v3, v5, v7
	v_sub_f32_e32 v5, v5, v7
	v_fmac_f32_e32 v17, 0xbf4f1bbd, v66
	v_fmamk_f32 v95, v91, 0xbf737871, v13
	v_fmac_f32_e32 v13, 0x3f737871, v91
	v_dual_fmac_f32 v11, 0x3f167918, v66 :: v_dual_add_f32 v6, v92, v8
	s_delay_alu instid0(VALU_DEP_3) | instskip(NEXT) | instid1(VALU_DEP_3)
	v_dual_sub_f32 v10, v68, v17 :: v_dual_fmac_f32 v95, 0x3f167918, v98
	v_fmac_f32_e32 v13, 0xbf167918, v98
	s_delay_alu instid0(VALU_DEP_3) | instskip(SKIP_1) | instid1(VALU_DEP_4)
	v_dual_add_f32 v15, v51, v11 :: v_dual_sub_f32 v8, v92, v8
	v_sub_f32_e32 v11, v51, v11
	v_fmac_f32_e32 v95, 0x3e9e377a, v77
	s_delay_alu instid0(VALU_DEP_4) | instskip(NEXT) | instid1(VALU_DEP_2)
	v_fmac_f32_e32 v13, 0x3e9e377a, v77
	v_add_f32_e32 v7, v95, v14
	s_delay_alu instid0(VALU_DEP_2)
	v_add_f32_e32 v43, v13, v47
	v_sub_f32_e32 v45, v13, v47
	v_add_f32_e32 v13, v49, v64
	v_sub_f32_e32 v47, v49, v64
	v_dual_sub_f32 v9, v95, v14 :: v_dual_add_f32 v14, v68, v17
	v_add_nc_u32_e32 v17, 0x800, v16
	v_lshlrev_b32_e32 v64, 2, v52
	v_add_nc_u32_e32 v16, 0x1000, v16
	ds_store_2addr_b64 v17, v[38:39], v[28:29] offset0:44 offset1:119
	v_lshlrev_b64_e32 v[28:29], 3, v[64:65]
	v_lshlrev_b32_e32 v64, 2, v56
	ds_store_2addr_b64 v18, v[32:33], v[36:37] offset0:66 offset1:141
	ds_store_2addr_b64 v16, v[26:27], v[40:41] offset0:88 offset1:163
	ds_store_2addr_b64 v0, v[12:13], v[2:3] offset1:75
	v_add_nc_u32_e32 v2, 0xc00, v0
	v_add_nc_u32_e32 v3, 0x1000, v0
	ds_store_2addr_b64 v0, v[6:7], v[42:43] offset0:150 offset1:225
	ds_store_2addr_b64 v1, v[14:15], v[46:47] offset0:44 offset1:119
	v_lshlrev_b64_e32 v[0:1], 3, v[64:65]
	v_lshlrev_b32_e32 v64, 2, v63
	ds_store_2addr_b64 v2, v[4:5], v[8:9] offset0:66 offset1:141
	ds_store_2addr_b64 v3, v[44:45], v[10:11] offset0:88 offset1:163
	global_wb scope:SCOPE_SE
	s_wait_dscnt 0x0
	s_barrier_signal -1
	s_barrier_wait -1
	v_add_co_u32 v8, s0, s4, v0
	v_lshlrev_b64_e32 v[4:5], 3, v[64:65]
	s_wait_alu 0xf1ff
	v_add_co_ci_u32_e64 v9, s0, s5, v1, s0
	global_inv scope:SCOPE_SE
	v_lshlrev_b32_e32 v64, 2, v62
	v_add_co_u32 v12, s0, s4, v4
	global_load_b128 v[0:3], v[8:9], off offset:5976
	s_wait_alu 0xf1ff
	v_add_co_ci_u32_e64 v13, s0, s5, v5, s0
	s_clause 0x1
	global_load_b128 v[4:7], v[12:13], off offset:5976
	global_load_b128 v[8:11], v[8:9], off offset:5992
	v_lshlrev_b64_e32 v[16:17], 3, v[64:65]
	v_lshlrev_b32_e32 v64, 2, v61
	global_load_b128 v[12:15], v[12:13], off offset:5992
	v_add_co_u32 v24, s0, s4, v16
	v_lshlrev_b64_e32 v[20:21], 3, v[64:65]
	s_wait_alu 0xf1ff
	v_add_co_ci_u32_e64 v25, s0, s5, v17, s0
	v_lshlrev_b32_e32 v64, 2, v60
	global_load_b128 v[16:19], v[24:25], off offset:5976
	v_add_co_u32 v30, s0, s4, v20
	s_wait_alu 0xf1ff
	v_add_co_ci_u32_e64 v31, s0, s5, v21, s0
	s_clause 0x2
	global_load_b128 v[20:23], v[30:31], off offset:5976
	global_load_b128 v[24:27], v[24:25], off offset:5992
	global_load_b128 v[41:44], v[30:31], off offset:5992
	v_add_co_u32 v28, s0, s4, v28
	v_lshlrev_b64_e32 v[30:31], 3, v[64:65]
	s_wait_alu 0xf1ff
	v_add_co_ci_u32_e64 v29, s0, s5, v29, s0
	global_load_b128 v[89:92], v[28:29], off offset:5976
	v_add_co_u32 v30, s0, s4, v30
	s_wait_alu 0xf1ff
	v_add_co_ci_u32_e64 v31, s0, s5, v31, s0
	s_clause 0x2
	global_load_b128 v[110:113], v[30:31], off offset:5976
	global_load_b128 v[114:117], v[28:29], off offset:5992
	;; [unrolled: 1-line block ×3, first 2 shown]
	ds_load_2addr_b64 v[29:32], v87 offset0:107 offset1:232
	ds_load_2addr_b64 v[33:36], v88 offset0:89 offset1:214
	;; [unrolled: 1-line block ×4, first 2 shown]
	s_wait_loadcnt_dscnt 0xb03
	v_mul_f32_e32 v28, v30, v1
	v_mul_f32_e32 v1, v29, v1
	s_wait_dscnt 0x2
	v_mul_f32_e32 v75, v34, v3
	v_mul_f32_e32 v3, v33, v3
	s_wait_loadcnt 0xa
	v_dual_fmac_f32 v28, v29, v0 :: v_dual_mul_f32 v29, v32, v5
	v_fma_f32 v30, v30, v0, -v1
	v_dual_mul_f32 v0, v31, v5 :: v_dual_fmac_f32 v75, v33, v2
	v_fma_f32 v76, v34, v2, -v3
	s_delay_alu instid0(VALU_DEP_4) | instskip(SKIP_1) | instid1(VALU_DEP_4)
	v_fmac_f32_e32 v29, v31, v4
	v_mul_f32_e32 v5, v35, v7
	v_fma_f32 v31, v32, v4, -v0
	ds_load_2addr_b64 v[0:3], v105 offset0:101 offset1:226
	ds_load_2addr_b64 v[103:106], v104 offset0:83 offset1:208
	v_mul_f32_e32 v69, v36, v7
	s_wait_loadcnt_dscnt 0x903
	v_mul_f32_e32 v77, v38, v9
	v_fma_f32 v70, v36, v6, -v5
	v_mul_f32_e32 v4, v37, v9
	s_wait_dscnt 0x2
	v_mul_f32_e32 v5, v45, v11
	v_fmac_f32_e32 v69, v35, v6
	v_mul_f32_e32 v87, v46, v11
	v_fmac_f32_e32 v77, v37, v8
	v_fma_f32 v88, v38, v8, -v4
	v_fma_f32 v93, v46, v10, -v5
	s_wait_loadcnt 0x8
	v_mul_f32_e32 v8, v39, v13
	ds_load_2addr_b64 v[4:7], v102 offset0:65 offset1:190
	v_mul_f32_e32 v71, v40, v13
	v_fmac_f32_e32 v87, v45, v10
	v_mul_f32_e32 v13, v47, v15
	v_fma_f32 v72, v40, v12, -v8
	ds_load_2addr_b64 v[8:11], v101 offset0:47 offset1:172
	v_mul_f32_e32 v73, v48, v15
	v_fmac_f32_e32 v71, v39, v12
	s_wait_loadcnt_dscnt 0x703
	v_mul_f32_e32 v49, v1, v17
	v_mul_f32_e32 v12, v0, v17
	v_fma_f32 v74, v48, v14, -v13
	s_wait_dscnt 0x2
	v_mul_f32_e32 v13, v103, v19
	ds_load_b64 v[32:33], v99
	v_fmac_f32_e32 v73, v47, v14
	v_fmac_f32_e32 v49, v0, v16
	v_fma_f32 v48, v1, v16, -v12
	s_wait_loadcnt 0x6
	v_mul_f32_e32 v0, v2, v21
	v_fma_f32 v51, v104, v18, -v13
	ds_load_2addr_b64 v[12:15], v100 offset0:95 offset1:220
	v_mul_f32_e32 v50, v104, v19
	v_mul_f32_e32 v36, v3, v21
	v_fma_f32 v35, v3, v20, -v0
	s_wait_loadcnt_dscnt 0x503
	v_mul_f32_e32 v64, v5, v25
	v_mul_f32_e32 v0, v4, v25
	v_dual_fmac_f32 v50, v103, v18 :: v_dual_mul_f32 v37, v106, v23
	v_dual_mul_f32 v1, v105, v23 :: v_dual_fmac_f32 v36, v2, v20
	s_wait_dscnt 0x2
	v_mul_f32_e32 v2, v8, v27
	v_fmac_f32_e32 v64, v4, v24
	v_fma_f32 v66, v5, v24, -v0
	s_wait_loadcnt 0x4
	v_mul_f32_e32 v39, v7, v42
	v_mul_f32_e32 v0, v6, v42
	;; [unrolled: 1-line block ×4, first 2 shown]
	ds_load_2addr_b64 v[16:19], v97 offset0:77 offset1:202
	v_fmac_f32_e32 v37, v105, v22
	v_mul_f32_e32 v68, v9, v27
	v_fma_f32 v38, v106, v22, -v1
	v_fma_f32 v67, v9, v26, -v2
	v_fmac_f32_e32 v39, v6, v41
	v_fma_f32 v41, v7, v41, -v0
	v_fmac_f32_e32 v40, v10, v43
	ds_load_b64 v[0:1], v86
	ds_load_b64 v[2:3], v81
	s_wait_loadcnt_dscnt 0x304
	v_mul_f32_e32 v5, v90, v32
	v_fma_f32 v42, v11, v43, -v4
	ds_load_2addr_b64 v[20:23], v96 offset0:59 offset1:184
	ds_load_b64 v[10:11], v78 offset:29000
	v_fmac_f32_e32 v68, v8, v26
	v_mul_f32_e32 v24, v90, v33
	v_fma_f32 v26, v89, v33, -v5
	s_wait_dscnt 0x5
	v_mul_f32_e32 v4, v92, v14
	s_wait_loadcnt 0x2
	v_mul_f32_e32 v5, v12, v111
	v_dual_mul_f32 v25, v92, v15 :: v_dual_fmac_f32 v24, v89, v32
	v_mul_f32_e32 v32, v13, v111
	v_fma_f32 v15, v91, v15, -v4
	s_delay_alu instid0(VALU_DEP_4)
	v_fma_f32 v33, v13, v110, -v5
	ds_load_b64 v[4:5], v83
	ds_load_b64 v[6:7], v82
	;; [unrolled: 1-line block ×3, first 2 shown]
	s_wait_dscnt 0x7
	v_mul_f32_e32 v34, v17, v113
	v_fmac_f32_e32 v32, v12, v110
	s_wait_loadcnt 0x1
	v_dual_mul_f32 v12, v16, v113 :: v_dual_mul_f32 v13, v115, v19
	s_delay_alu instid0(VALU_DEP_3) | instskip(SKIP_1) | instid1(VALU_DEP_3)
	v_dual_fmac_f32 v25, v91, v14 :: v_dual_fmac_f32 v34, v16, v112
	v_mul_f32_e32 v14, v115, v18
	v_fma_f32 v43, v17, v112, -v12
	s_wait_dscnt 0x4
	v_dual_fmac_f32 v13, v114, v18 :: v_dual_mul_f32 v16, v23, v117
	v_mul_f32_e32 v12, v22, v117
	s_wait_loadcnt_dscnt 0x3
	v_mul_f32_e32 v47, v11, v121
	v_mul_f32_e32 v45, v21, v119
	v_fma_f32 v17, v114, v19, -v14
	v_fmac_f32_e32 v16, v22, v116
	v_fma_f32 v18, v23, v116, -v12
	v_mul_f32_e32 v12, v10, v121
	v_dual_fmac_f32 v47, v10, v120 :: v_dual_add_f32 v10, v25, v13
	v_mul_f32_e32 v14, v20, v119
	v_fmac_f32_e32 v45, v20, v118
	s_delay_alu instid0(VALU_DEP_4)
	v_fma_f32 v46, v11, v120, -v12
	v_add_f32_e32 v11, v24, v16
	s_wait_dscnt 0x0
	v_fma_f32 v10, -0.5, v10, v8
	v_sub_f32_e32 v20, v26, v18
	v_fma_f32 v44, v21, v118, -v14
	v_sub_f32_e32 v14, v24, v25
	v_sub_f32_e32 v19, v16, v13
	v_add_f32_e32 v21, v8, v24
	v_fma_f32 v8, -0.5, v11, v8
	v_dual_sub_f32 v11, v15, v17 :: v_dual_fmamk_f32 v12, v20, 0xbf737871, v10
	s_delay_alu instid0(VALU_DEP_4) | instskip(SKIP_1) | instid1(VALU_DEP_3)
	v_dual_fmac_f32 v10, 0x3f737871, v20 :: v_dual_add_f32 v19, v14, v19
	v_sub_f32_e32 v22, v25, v24
	v_dual_sub_f32 v23, v13, v16 :: v_dual_fmamk_f32 v14, v11, 0x3f737871, v8
	v_fmac_f32_e32 v8, 0xbf737871, v11
	v_fmac_f32_e32 v12, 0xbf167918, v11
	;; [unrolled: 1-line block ×3, first 2 shown]
	s_delay_alu instid0(VALU_DEP_4) | instskip(NEXT) | instid1(VALU_DEP_4)
	v_dual_add_f32 v11, v22, v23 :: v_dual_fmac_f32 v14, 0xbf167918, v20
	v_fmac_f32_e32 v8, 0x3f167918, v20
	s_delay_alu instid0(VALU_DEP_4) | instskip(SKIP_3) | instid1(VALU_DEP_3)
	v_fmac_f32_e32 v12, 0x3e9e377a, v19
	v_add_f32_e32 v20, v9, v26
	v_dual_fmac_f32 v10, 0x3e9e377a, v19 :: v_dual_add_f32 v19, v21, v25
	v_dual_add_f32 v21, v15, v17 :: v_dual_fmac_f32 v14, 0x3e9e377a, v11
	v_add_f32_e32 v20, v20, v15
	v_fmac_f32_e32 v8, 0x3e9e377a, v11
	v_sub_f32_e32 v22, v25, v13
	s_delay_alu instid0(VALU_DEP_4) | instskip(SKIP_4) | instid1(VALU_DEP_4)
	v_fma_f32 v11, -0.5, v21, v9
	v_sub_f32_e32 v21, v24, v16
	v_add_f32_e32 v25, v26, v18
	v_add_f32_e32 v19, v19, v13
	v_dual_add_f32 v20, v20, v17 :: v_dual_sub_f32 v23, v26, v15
	v_dual_sub_f32 v24, v18, v17 :: v_dual_fmamk_f32 v13, v21, 0x3f737871, v11
	v_fmac_f32_e32 v11, 0xbf737871, v21
	s_delay_alu instid0(VALU_DEP_4) | instskip(NEXT) | instid1(VALU_DEP_3)
	v_dual_fmac_f32 v9, -0.5, v25 :: v_dual_add_f32 v16, v19, v16
	v_add_f32_e32 v19, v23, v24
	s_delay_alu instid0(VALU_DEP_4) | instskip(NEXT) | instid1(VALU_DEP_4)
	v_fmac_f32_e32 v13, 0x3f167918, v22
	v_fmac_f32_e32 v11, 0xbf167918, v22
	v_sub_f32_e32 v23, v15, v26
	v_sub_f32_e32 v24, v17, v18
	v_add_f32_e32 v17, v20, v18
	v_fmamk_f32 v15, v22, 0xbf737871, v9
	v_dual_fmac_f32 v9, 0x3f737871, v22 :: v_dual_add_f32 v18, v75, v77
	v_dual_fmac_f32 v13, 0x3e9e377a, v19 :: v_dual_add_f32 v90, v31, v74
	v_fmac_f32_e32 v11, 0x3e9e377a, v19
	v_dual_add_f32 v19, v23, v24 :: v_dual_sub_f32 v20, v28, v75
	v_sub_f32_e32 v22, v87, v77
	v_fmac_f32_e32 v15, 0x3f167918, v21
	v_fmac_f32_e32 v9, 0xbf167918, v21
	v_add_f32_e32 v21, v28, v87
	v_fma_f32 v18, -0.5, v18, v6
	v_dual_sub_f32 v23, v30, v93 :: v_dual_add_f32 v24, v20, v22
	v_add_f32_e32 v25, v6, v28
	s_delay_alu instid0(VALU_DEP_4) | instskip(NEXT) | instid1(VALU_DEP_3)
	v_fma_f32 v6, -0.5, v21, v6
	v_dual_sub_f32 v21, v76, v88 :: v_dual_fmamk_f32 v20, v23, 0xbf737871, v18
	v_fmac_f32_e32 v18, 0x3f737871, v23
	v_dual_sub_f32 v26, v75, v28 :: v_dual_sub_f32 v27, v77, v87
	s_delay_alu instid0(VALU_DEP_3)
	v_fmamk_f32 v22, v21, 0x3f737871, v6
	v_fmac_f32_e32 v6, 0xbf737871, v21
	v_fmac_f32_e32 v20, 0xbf167918, v21
	;; [unrolled: 1-line block ×5, first 2 shown]
	v_dual_fmac_f32 v6, 0x3f167918, v23 :: v_dual_add_f32 v23, v7, v30
	v_dual_fmac_f32 v9, 0x3e9e377a, v19 :: v_dual_fmac_f32 v20, 0x3e9e377a, v24
	v_dual_add_f32 v19, v25, v75 :: v_dual_fmac_f32 v18, 0x3e9e377a, v24
	v_dual_add_f32 v24, v76, v88 :: v_dual_add_f32 v21, v26, v27
	s_delay_alu instid0(VALU_DEP_4) | instskip(NEXT) | instid1(VALU_DEP_3)
	v_add_f32_e32 v23, v23, v76
	v_add_f32_e32 v25, v19, v77
	v_sub_f32_e32 v27, v28, v87
	s_delay_alu instid0(VALU_DEP_4) | instskip(SKIP_3) | instid1(VALU_DEP_4)
	v_fma_f32 v19, -0.5, v24, v7
	v_fmac_f32_e32 v22, 0x3e9e377a, v21
	v_dual_fmac_f32 v6, 0x3e9e377a, v21 :: v_dual_add_f32 v23, v23, v88
	v_sub_f32_e32 v26, v75, v77
	v_dual_sub_f32 v28, v30, v76 :: v_dual_fmamk_f32 v21, v27, 0x3f737871, v19
	v_fmac_f32_e32 v19, 0xbf737871, v27
	v_add_f32_e32 v77, v30, v93
	v_add_f32_e32 v91, v48, v67
	v_sub_f32_e32 v75, v93, v88
	v_dual_add_f32 v24, v25, v87 :: v_dual_add_f32 v25, v23, v93
	v_fmac_f32_e32 v21, 0x3f167918, v26
	v_fmac_f32_e32 v19, 0xbf167918, v26
	s_delay_alu instid0(VALU_DEP_4) | instskip(SKIP_2) | instid1(VALU_DEP_3)
	v_add_f32_e32 v23, v28, v75
	v_fmac_f32_e32 v7, -0.5, v77
	v_dual_add_f32 v75, v69, v71 :: v_dual_sub_f32 v28, v76, v30
	v_dual_sub_f32 v30, v88, v93 :: v_dual_fmac_f32 v21, 0x3e9e377a, v23
	v_fmac_f32_e32 v19, 0x3e9e377a, v23
	s_delay_alu instid0(VALU_DEP_4) | instskip(SKIP_3) | instid1(VALU_DEP_4)
	v_fmamk_f32 v23, v26, 0xbf737871, v7
	v_fmac_f32_e32 v7, 0x3f737871, v26
	v_fma_f32 v26, -0.5, v75, v4
	v_sub_f32_e32 v75, v31, v74
	v_dual_add_f32 v76, v28, v30 :: v_dual_fmac_f32 v23, 0x3f167918, v27
	s_delay_alu instid0(VALU_DEP_4) | instskip(SKIP_4) | instid1(VALU_DEP_4)
	v_fmac_f32_e32 v7, 0xbf167918, v27
	v_add_f32_e32 v27, v29, v73
	v_sub_f32_e32 v30, v29, v69
	v_dual_sub_f32 v77, v73, v71 :: v_dual_fmamk_f32 v28, v75, 0xbf737871, v26
	v_dual_sub_f32 v87, v70, v72 :: v_dual_add_f32 v88, v4, v29
	v_fma_f32 v4, -0.5, v27, v4
	s_delay_alu instid0(VALU_DEP_3) | instskip(NEXT) | instid1(VALU_DEP_3)
	v_dual_fmac_f32 v26, 0x3f737871, v75 :: v_dual_add_f32 v77, v30, v77
	v_dual_fmac_f32 v28, 0xbf167918, v87 :: v_dual_sub_f32 v27, v69, v29
	s_delay_alu instid0(VALU_DEP_3) | instskip(SKIP_1) | instid1(VALU_DEP_4)
	v_fmamk_f32 v30, v87, 0x3f737871, v4
	v_fmac_f32_e32 v4, 0xbf737871, v87
	v_fmac_f32_e32 v26, 0x3f167918, v87
	v_add_f32_e32 v87, v5, v31
	s_delay_alu instid0(VALU_DEP_4) | instskip(NEXT) | instid1(VALU_DEP_4)
	v_dual_sub_f32 v89, v71, v73 :: v_dual_fmac_f32 v30, 0xbf167918, v75
	v_dual_fmac_f32 v4, 0x3f167918, v75 :: v_dual_add_f32 v75, v88, v69
	s_delay_alu instid0(VALU_DEP_3) | instskip(NEXT) | instid1(VALU_DEP_3)
	v_add_f32_e32 v87, v87, v70
	v_add_f32_e32 v27, v27, v89
	v_fmac_f32_e32 v23, 0x3e9e377a, v76
	v_fmac_f32_e32 v7, 0x3e9e377a, v76
	v_add_f32_e32 v75, v75, v71
	v_add_f32_e32 v76, v87, v72
	ds_load_b64 v[87:88], v84
	v_fmac_f32_e32 v30, 0x3e9e377a, v27
	v_dual_fmac_f32 v4, 0x3e9e377a, v27 :: v_dual_add_f32 v27, v70, v72
	v_add_f32_e32 v75, v75, v73
	v_sub_f32_e32 v73, v29, v73
	v_dual_sub_f32 v69, v69, v71 :: v_dual_fmac_f32 v28, 0x3e9e377a, v77
	s_delay_alu instid0(VALU_DEP_4)
	v_fma_f32 v27, -0.5, v27, v5
	v_dual_fmac_f32 v5, -0.5, v90 :: v_dual_fmac_f32 v26, 0x3e9e377a, v77
	v_add_f32_e32 v76, v76, v74
	v_sub_f32_e32 v77, v31, v70
	v_sub_f32_e32 v89, v74, v72
	v_dual_sub_f32 v70, v70, v31 :: v_dual_fmamk_f32 v29, v73, 0x3f737871, v27
	v_dual_sub_f32 v72, v72, v74 :: v_dual_fmac_f32 v27, 0xbf737871, v73
	v_fmamk_f32 v31, v69, 0xbf737871, v5
	v_dual_fmac_f32 v5, 0x3f737871, v69 :: v_dual_add_f32 v74, v50, v64
	s_delay_alu instid0(VALU_DEP_4) | instskip(NEXT) | instid1(VALU_DEP_4)
	v_fmac_f32_e32 v29, 0x3f167918, v69
	v_fmac_f32_e32 v27, 0xbf167918, v69
	s_delay_alu instid0(VALU_DEP_4) | instskip(NEXT) | instid1(VALU_DEP_4)
	v_dual_fmac_f32 v31, 0x3f167918, v73 :: v_dual_add_f32 v70, v70, v72
	v_fmac_f32_e32 v5, 0xbf167918, v73
	s_wait_dscnt 0x0
	v_fma_f32 v69, -0.5, v74, v87
	v_dual_sub_f32 v73, v49, v50 :: v_dual_sub_f32 v74, v68, v64
	v_dual_add_f32 v71, v77, v89 :: v_dual_sub_f32 v72, v48, v67
	v_fmac_f32_e32 v31, 0x3e9e377a, v70
	v_fmac_f32_e32 v5, 0x3e9e377a, v70
	s_delay_alu instid0(VALU_DEP_4)
	v_add_f32_e32 v73, v73, v74
	v_add_f32_e32 v74, v49, v68
	v_dual_add_f32 v70, v87, v49 :: v_dual_fmac_f32 v29, 0x3e9e377a, v71
	v_fmac_f32_e32 v27, 0x3e9e377a, v71
	v_fmamk_f32 v71, v72, 0xbf737871, v69
	v_sub_f32_e32 v77, v51, v66
	v_fmac_f32_e32 v69, 0x3f737871, v72
	v_fma_f32 v87, -0.5, v74, v87
	v_add_f32_e32 v74, v88, v48
	s_delay_alu instid0(VALU_DEP_4) | instskip(NEXT) | instid1(VALU_DEP_4)
	v_dual_add_f32 v70, v70, v50 :: v_dual_fmac_f32 v71, 0xbf167918, v77
	v_fmac_f32_e32 v69, 0x3f167918, v77
	v_dual_sub_f32 v89, v50, v49 :: v_dual_sub_f32 v90, v64, v68
	s_delay_alu instid0(VALU_DEP_4) | instskip(NEXT) | instid1(VALU_DEP_4)
	v_add_f32_e32 v74, v74, v51
	v_dual_add_f32 v70, v70, v64 :: v_dual_fmac_f32 v71, 0x3e9e377a, v73
	s_delay_alu instid0(VALU_DEP_4)
	v_fmac_f32_e32 v69, 0x3e9e377a, v73
	v_fmamk_f32 v73, v77, 0x3f737871, v87
	v_fmac_f32_e32 v87, 0xbf737871, v77
	v_add_f32_e32 v77, v89, v90
	v_add_f32_e32 v74, v74, v66
	v_dual_add_f32 v89, v70, v68 :: v_dual_add_f32 v70, v51, v66
	v_fmac_f32_e32 v73, 0xbf167918, v72
	s_delay_alu instid0(VALU_DEP_3)
	v_dual_fmac_f32 v87, 0x3f167918, v72 :: v_dual_add_f32 v90, v74, v67
	v_sub_f32_e32 v72, v48, v51
	v_sub_f32_e32 v74, v67, v66
	v_fma_f32 v70, -0.5, v70, v88
	v_sub_f32_e32 v49, v49, v68
	v_sub_f32_e32 v50, v50, v64
	v_fmac_f32_e32 v88, -0.5, v91
	v_add_f32_e32 v64, v72, v74
	v_sub_f32_e32 v48, v51, v48
	v_fmamk_f32 v72, v49, 0x3f737871, v70
	v_dual_fmac_f32 v70, 0xbf737871, v49 :: v_dual_sub_f32 v51, v66, v67
	v_fmamk_f32 v74, v50, 0xbf737871, v88
	v_fmac_f32_e32 v88, 0x3f737871, v50
	s_delay_alu instid0(VALU_DEP_4) | instskip(NEXT) | instid1(VALU_DEP_4)
	v_fmac_f32_e32 v72, 0x3f167918, v50
	v_dual_fmac_f32 v70, 0xbf167918, v50 :: v_dual_add_f32 v51, v48, v51
	v_add_f32_e32 v48, v37, v39
	v_sub_f32_e32 v66, v40, v39
	s_delay_alu instid0(VALU_DEP_4) | instskip(NEXT) | instid1(VALU_DEP_4)
	v_fmac_f32_e32 v72, 0x3e9e377a, v64
	v_fmac_f32_e32 v70, 0x3e9e377a, v64
	v_sub_f32_e32 v64, v36, v37
	v_fmac_f32_e32 v74, 0x3f167918, v49
	v_fmac_f32_e32 v88, 0xbf167918, v49
	v_fma_f32 v48, -0.5, v48, v2
	v_sub_f32_e32 v49, v35, v42
	v_add_f32_e32 v64, v64, v66
	v_dual_add_f32 v66, v36, v40 :: v_dual_sub_f32 v67, v38, v41
	v_fmac_f32_e32 v74, 0x3e9e377a, v51
	s_delay_alu instid0(VALU_DEP_4)
	v_fmamk_f32 v50, v49, 0xbf737871, v48
	v_fmac_f32_e32 v48, 0x3f737871, v49
	v_dual_fmac_f32 v88, 0x3e9e377a, v51 :: v_dual_add_f32 v51, v2, v36
	v_fma_f32 v2, -0.5, v66, v2
	v_dual_add_f32 v66, v3, v35 :: v_dual_fmac_f32 v73, 0x3e9e377a, v77
	v_fmac_f32_e32 v87, 0x3e9e377a, v77
	v_fmac_f32_e32 v50, 0xbf167918, v67
	v_dual_fmac_f32 v48, 0x3f167918, v67 :: v_dual_add_f32 v51, v51, v37
	s_delay_alu instid0(VALU_DEP_4) | instskip(SKIP_1) | instid1(VALU_DEP_4)
	v_dual_add_f32 v77, v66, v38 :: v_dual_fmamk_f32 v66, v67, 0x3f737871, v2
	v_fmac_f32_e32 v2, 0xbf737871, v67
	v_fmac_f32_e32 v50, 0x3e9e377a, v64
	s_delay_alu instid0(VALU_DEP_4)
	v_fmac_f32_e32 v48, 0x3e9e377a, v64
	v_sub_f32_e32 v64, v37, v36
	v_sub_f32_e32 v68, v39, v40
	v_add_f32_e32 v51, v51, v39
	v_add_f32_e32 v67, v77, v41
	v_fmac_f32_e32 v66, 0xbf167918, v49
	v_fmac_f32_e32 v2, 0x3f167918, v49
	v_dual_add_f32 v49, v38, v41 :: v_dual_add_f32 v64, v64, v68
	v_add_f32_e32 v91, v51, v40
	v_add_f32_e32 v92, v67, v42
	v_sub_f32_e32 v51, v35, v38
	v_dual_sub_f32 v67, v42, v41 :: v_dual_add_f32 v68, v35, v42
	v_fma_f32 v49, -0.5, v49, v3
	v_dual_sub_f32 v36, v36, v40 :: v_dual_sub_f32 v37, v37, v39
	s_delay_alu instid0(VALU_DEP_3) | instskip(NEXT) | instid1(VALU_DEP_4)
	v_add_f32_e32 v39, v51, v67
	v_fmac_f32_e32 v3, -0.5, v68
	v_sub_f32_e32 v35, v38, v35
	s_delay_alu instid0(VALU_DEP_4) | instskip(SKIP_1) | instid1(VALU_DEP_4)
	v_fmamk_f32 v51, v36, 0x3f737871, v49
	v_dual_fmac_f32 v49, 0xbf737871, v36 :: v_dual_sub_f32 v38, v41, v42
	v_fmamk_f32 v67, v37, 0xbf737871, v3
	v_fmac_f32_e32 v3, 0x3f737871, v37
	s_delay_alu instid0(VALU_DEP_4) | instskip(NEXT) | instid1(VALU_DEP_4)
	v_fmac_f32_e32 v51, 0x3f167918, v37
	v_dual_fmac_f32 v49, 0xbf167918, v37 :: v_dual_add_f32 v38, v35, v38
	v_add_f32_e32 v35, v34, v45
	v_fmac_f32_e32 v67, 0x3f167918, v36
	v_dual_fmac_f32 v3, 0xbf167918, v36 :: v_dual_sub_f32 v36, v33, v46
	v_fmac_f32_e32 v51, 0x3e9e377a, v39
	s_delay_alu instid0(VALU_DEP_4) | instskip(SKIP_3) | instid1(VALU_DEP_4)
	v_fma_f32 v35, -0.5, v35, v0
	v_fmac_f32_e32 v49, 0x3e9e377a, v39
	v_dual_sub_f32 v39, v32, v34 :: v_dual_sub_f32 v40, v47, v45
	v_sub_f32_e32 v41, v43, v44
	v_fmamk_f32 v37, v36, 0xbf737871, v35
	v_fmac_f32_e32 v35, 0x3f737871, v36
	v_fmac_f32_e32 v67, 0x3e9e377a, v38
	v_dual_add_f32 v39, v39, v40 :: v_dual_add_f32 v40, v32, v47
	s_delay_alu instid0(VALU_DEP_4) | instskip(SKIP_2) | instid1(VALU_DEP_4)
	v_fmac_f32_e32 v37, 0xbf167918, v41
	v_fmac_f32_e32 v3, 0x3e9e377a, v38
	v_dual_fmac_f32 v35, 0x3f167918, v41 :: v_dual_add_f32 v38, v0, v32
	v_fma_f32 v0, -0.5, v40, v0
	s_delay_alu instid0(VALU_DEP_4) | instskip(NEXT) | instid1(VALU_DEP_3)
	v_dual_add_f32 v40, v1, v33 :: v_dual_fmac_f32 v37, 0x3e9e377a, v39
	v_dual_fmac_f32 v35, 0x3e9e377a, v39 :: v_dual_add_f32 v38, v38, v34
	s_delay_alu instid0(VALU_DEP_2)
	v_dual_fmamk_f32 v39, v41, 0x3f737871, v0 :: v_dual_add_f32 v40, v40, v43
	v_fmac_f32_e32 v0, 0xbf737871, v41
	v_fmac_f32_e32 v66, 0x3e9e377a, v64
	;; [unrolled: 1-line block ×3, first 2 shown]
	v_sub_f32_e32 v42, v34, v32
	v_sub_f32_e32 v64, v45, v47
	v_add_f32_e32 v38, v38, v45
	v_add_f32_e32 v40, v40, v44
	v_fmac_f32_e32 v39, 0xbf167918, v36
	v_fmac_f32_e32 v0, 0x3f167918, v36
	v_add_f32_e32 v36, v43, v44
	v_add_f32_e32 v68, v33, v46
	;; [unrolled: 1-line block ×3, first 2 shown]
	v_dual_add_f32 v41, v38, v47 :: v_dual_add_f32 v42, v40, v46
	v_sub_f32_e32 v38, v33, v43
	v_sub_f32_e32 v40, v46, v44
	v_fma_f32 v36, -0.5, v36, v1
	v_sub_f32_e32 v32, v32, v47
	v_dual_sub_f32 v34, v34, v45 :: v_dual_fmac_f32 v1, -0.5, v68
	s_delay_alu instid0(VALU_DEP_4) | instskip(NEXT) | instid1(VALU_DEP_3)
	v_add_f32_e32 v45, v38, v40
	v_dual_sub_f32 v33, v43, v33 :: v_dual_fmamk_f32 v38, v32, 0x3f737871, v36
	v_dual_fmac_f32 v36, 0xbf737871, v32 :: v_dual_sub_f32 v43, v44, v46
	s_delay_alu instid0(VALU_DEP_4) | instskip(SKIP_1) | instid1(VALU_DEP_4)
	v_fmamk_f32 v40, v34, 0xbf737871, v1
	v_fmac_f32_e32 v1, 0x3f737871, v34
	v_fmac_f32_e32 v38, 0x3f167918, v34
	s_delay_alu instid0(VALU_DEP_4) | instskip(NEXT) | instid1(VALU_DEP_4)
	v_dual_fmac_f32 v36, 0xbf167918, v34 :: v_dual_add_f32 v33, v33, v43
	v_fmac_f32_e32 v40, 0x3f167918, v32
	s_delay_alu instid0(VALU_DEP_4)
	v_fmac_f32_e32 v1, 0xbf167918, v32
	v_fmac_f32_e32 v39, 0x3e9e377a, v64
	;; [unrolled: 1-line block ×7, first 2 shown]
	global_wb scope:SCOPE_SE
	s_barrier_signal -1
	s_barrier_wait -1
	global_inv scope:SCOPE_SE
	ds_store_b64 v78, v[16:17]
	ds_store_b64 v78, v[12:13] offset:6000
	ds_store_b64 v78, v[14:15] offset:12000
	ds_store_b64 v78, v[8:9] offset:18000
	ds_store_b64 v78, v[10:11] offset:24000
	ds_store_b64 v82, v[24:25]
	ds_store_b64 v82, v[20:21] offset:6000
	ds_store_b64 v82, v[22:23] offset:12000
	ds_store_b64 v82, v[6:7] offset:18000
	ds_store_b64 v82, v[18:19] offset:24000
	;; [unrolled: 5-line block ×6, first 2 shown]
	global_wb scope:SCOPE_SE
	s_wait_dscnt 0x0
	s_barrier_signal -1
	s_barrier_wait -1
	global_inv scope:SCOPE_SE
	ds_load_b64 v[4:5], v78
	v_sub_nc_u32_e32 v6, 0, v53
                                        ; implicit-def: $vgpr3
                                        ; implicit-def: $vgpr9
                                        ; implicit-def: $vgpr0_vgpr1
	v_cmpx_ne_u32_e32 0, v52
	s_wait_alu 0xfffe
	s_xor_b32 s1, exec_lo, s1
	s_cbranch_execz .LBB0_15
; %bb.14:
	ds_load_b64 v[2:3], v6 offset:30000
	s_wait_dscnt 0x0
	v_dual_mov_b32 v53, v65 :: v_dual_add_f32 v8, v3, v5
	s_delay_alu instid0(VALU_DEP_1) | instskip(SKIP_1) | instid1(VALU_DEP_3)
	v_lshlrev_b64_e32 v[0:1], 3, v[52:53]
	v_dual_sub_f32 v7, v4, v2 :: v_dual_add_f32 v2, v2, v4
	v_dual_sub_f32 v3, v5, v3 :: v_dual_mul_f32 v4, 0.5, v8
	s_delay_alu instid0(VALU_DEP_3) | instskip(SKIP_1) | instid1(VALU_DEP_4)
	v_add_co_u32 v0, s0, s4, v0
	s_wait_alu 0xf1ff
	v_add_co_ci_u32_e64 v1, s0, s5, v1, s0
	s_delay_alu instid0(VALU_DEP_3) | instskip(SKIP_3) | instid1(VALU_DEP_1)
	v_mul_f32_e32 v3, 0.5, v3
	global_load_b64 v[0:1], v[0:1], off offset:29976
	v_mul_f32_e32 v5, 0.5, v7
	s_wait_loadcnt 0x0
	v_mul_f32_e32 v7, v1, v5
	v_fma_f32 v8, v4, v1, v3
	v_fma_f32 v1, v4, v1, -v3
	s_delay_alu instid0(VALU_DEP_3) | instskip(SKIP_1) | instid1(VALU_DEP_2)
	v_fma_f32 v10, 0.5, v2, v7
	v_fma_f32 v2, v2, 0.5, -v7
	v_fmac_f32_e32 v10, v0, v4
	v_fma_f32 v9, -v0, v5, v8
	s_delay_alu instid0(VALU_DEP_3)
	v_fma_f32 v2, -v0, v4, v2
	v_fma_f32 v3, -v0, v5, v1
	v_dual_mov_b32 v0, v52 :: v_dual_mov_b32 v1, v53
	ds_store_b32 v78, v10
                                        ; implicit-def: $vgpr4_vgpr5
.LBB0_15:
	s_wait_alu 0xfffe
	s_or_saveexec_b32 s0, s1
	v_sub_nc_u32_e32 v7, 0, v57
	v_sub_nc_u32_e32 v8, 0, v85
	s_wait_alu 0xfffe
	s_xor_b32 exec_lo, exec_lo, s0
	s_cbranch_execz .LBB0_17
; %bb.16:
	s_wait_dscnt 0x0
	v_dual_mov_b32 v9, 0 :: v_dual_add_f32 v10, v4, v5
	v_sub_f32_e32 v2, v4, v5
	ds_load_b32 v0, v9 offset:15004
	v_mov_b32_e32 v3, v9
	s_wait_dscnt 0x0
	v_xor_b32_e32 v4, 0x80000000, v0
	v_mov_b32_e32 v0, 0
	v_mov_b32_e32 v1, 0
	ds_store_b32 v78, v10
	ds_store_b32 v9, v4 offset:15004
.LBB0_17:
	s_or_b32 exec_lo, exec_lo, s0
	v_mov_b32_e32 v57, 0
	v_lshlrev_b64_e32 v[0:1], 3, v[0:1]
	s_wait_dscnt 0x0
	s_delay_alu instid0(VALU_DEP_2) | instskip(SKIP_1) | instid1(VALU_DEP_1)
	v_lshlrev_b64_e32 v[4:5], 3, v[56:57]
	v_mov_b32_e32 v64, v57
	v_lshlrev_b64_e32 v[10:11], 3, v[63:64]
	v_mov_b32_e32 v63, v57
	s_delay_alu instid0(VALU_DEP_4) | instskip(SKIP_2) | instid1(VALU_DEP_4)
	v_add_co_u32 v4, s0, s4, v4
	s_wait_alu 0xf1ff
	v_add_co_ci_u32_e64 v5, s0, s5, v5, s0
	v_add_co_u32 v10, s0, s4, v10
	s_wait_alu 0xf1ff
	v_add_co_ci_u32_e64 v11, s0, s5, v11, s0
	global_load_b64 v[4:5], v[4:5], off offset:29976
	v_lshlrev_b64_e32 v[12:13], 3, v[62:63]
	v_mov_b32_e32 v62, v57
	global_load_b64 v[10:11], v[10:11], off offset:29976
	v_add_co_u32 v12, s0, s4, v12
	s_wait_alu 0xf1ff
	v_add_co_ci_u32_e64 v13, s0, s5, v13, s0
	v_lshlrev_b64_e32 v[14:15], 3, v[61:62]
	v_mov_b32_e32 v61, v57
	global_load_b64 v[12:13], v[12:13], off offset:29976
	v_add_co_u32 v14, s0, s4, v14
	s_wait_alu 0xf1ff
	v_add_co_ci_u32_e64 v15, s0, s5, v15, s0
	;; [unrolled: 6-line block ×3, first 2 shown]
	v_lshlrev_b64_e32 v[18:19], 3, v[59:60]
	global_load_b64 v[16:17], v[16:17], off offset:29976
	v_add_co_u32 v18, s0, s4, v18
	s_wait_alu 0xf1ff
	v_add_co_ci_u32_e64 v19, s0, s5, v19, s0
	s_add_nc_u64 s[0:1], s[4:5], 0x7518
	s_wait_alu 0xfffe
	v_add_co_u32 v20, s0, s0, v0
	global_load_b64 v[18:19], v[18:19], off offset:29976
	ds_store_b32 v78, v9 offset:4
	ds_store_b64 v6, v[2:3] offset:30000
	ds_load_b64 v[2:3], v82
	ds_load_b64 v[22:23], v6 offset:29000
	s_wait_alu 0xf1ff
	v_add_co_ci_u32_e64 v21, s0, s1, v1, s0
	global_load_b64 v[24:25], v[20:21], off offset:7000
	s_wait_dscnt 0x0
	v_dual_sub_f32 v9, v2, v22 :: v_dual_add_f32 v26, v3, v23
	v_dual_sub_f32 v3, v3, v23 :: v_dual_add_f32 v22, v2, v22
	s_delay_alu instid0(VALU_DEP_2) | instskip(NEXT) | instid1(VALU_DEP_3)
	v_mul_f32_e32 v23, 0.5, v26
	v_mul_f32_e32 v9, 0.5, v9
	s_wait_loadcnt 0x6
	s_delay_alu instid0(VALU_DEP_1) | instskip(NEXT) | instid1(VALU_DEP_1)
	v_dual_mul_f32 v3, 0.5, v3 :: v_dual_mul_f32 v26, v5, v9
	v_fma_f32 v27, v23, v5, v3
	v_fma_f32 v5, v23, v5, -v3
	s_delay_alu instid0(VALU_DEP_3) | instskip(SKIP_1) | instid1(VALU_DEP_2)
	v_fma_f32 v2, 0.5, v22, v26
	v_fma_f32 v22, v22, 0.5, -v26
	v_fmac_f32_e32 v2, v4, v23
	v_fma_f32 v3, -v4, v9, v27
	v_fma_f32 v5, -v4, v9, v5
	s_delay_alu instid0(VALU_DEP_4)
	v_fma_f32 v4, -v4, v23, v22
	ds_store_b64 v82, v[2:3]
	ds_store_b64 v6, v[4:5] offset:29000
	ds_load_b64 v[2:3], v83
	ds_load_b64 v[4:5], v6 offset:28000
	global_load_b64 v[22:23], v[20:21], off offset:8000
	s_wait_dscnt 0x0
	v_dual_sub_f32 v9, v2, v4 :: v_dual_add_f32 v26, v3, v5
	v_add_f32_e32 v27, v2, v4
	s_delay_alu instid0(VALU_DEP_2) | instskip(NEXT) | instid1(VALU_DEP_3)
	v_mul_f32_e32 v9, 0.5, v9
	v_dual_mov_b32 v59, v57 :: v_dual_mul_f32 v26, 0.5, v26
	s_wait_loadcnt 0x6
	s_delay_alu instid0(VALU_DEP_2) | instskip(NEXT) | instid1(VALU_DEP_1)
	v_mul_f32_e32 v28, v11, v9
	v_fma_f32 v4, 0.5, v27, v28
	v_sub_f32_e32 v3, v3, v5
	v_fma_f32 v27, v27, 0.5, -v28
	s_delay_alu instid0(VALU_DEP_2) | instskip(SKIP_1) | instid1(VALU_DEP_2)
	v_dual_fmac_f32 v4, v10, v26 :: v_dual_mul_f32 v5, 0.5, v3
	v_lshlrev_b64_e32 v[2:3], 3, v[58:59]
	v_fma_f32 v29, v26, v11, v5
	v_fma_f32 v11, v26, v11, -v5
	s_delay_alu instid0(VALU_DEP_3) | instskip(SKIP_1) | instid1(VALU_DEP_4)
	v_add_co_u32 v2, s0, s4, v2
	s_wait_alu 0xf1ff
	v_add_co_ci_u32_e64 v3, s0, s5, v3, s0
	v_fma_f32 v5, -v10, v9, v29
	v_fma_f32 v11, -v10, v9, v11
	;; [unrolled: 1-line block ×3, first 2 shown]
	global_load_b64 v[2:3], v[2:3], off offset:29976
	ds_store_b64 v83, v[4:5]
	ds_store_b64 v6, v[10:11] offset:28000
	ds_load_b64 v[4:5], v84
	ds_load_b64 v[9:10], v6 offset:27000
	s_wait_dscnt 0x0
	v_dual_sub_f32 v11, v4, v9 :: v_dual_add_f32 v26, v5, v10
	v_sub_f32_e32 v5, v5, v10
	s_delay_alu instid0(VALU_DEP_2) | instskip(NEXT) | instid1(VALU_DEP_3)
	v_dual_add_f32 v9, v4, v9 :: v_dual_mul_f32 v10, 0.5, v11
	v_mul_f32_e32 v11, 0.5, v26
	s_wait_loadcnt 0x6
	s_delay_alu instid0(VALU_DEP_2) | instskip(NEXT) | instid1(VALU_DEP_1)
	v_mul_f32_e32 v26, v13, v10
	v_fma_f32 v4, 0.5, v9, v26
	v_fma_f32 v9, v9, 0.5, -v26
	s_delay_alu instid0(VALU_DEP_2) | instskip(NEXT) | instid1(VALU_DEP_2)
	v_dual_fmac_f32 v4, v12, v11 :: v_dual_mul_f32 v5, 0.5, v5
	v_fma_f32 v9, -v12, v11, v9
	s_delay_alu instid0(VALU_DEP_2) | instskip(SKIP_1) | instid1(VALU_DEP_2)
	v_fma_f32 v27, v11, v13, v5
	v_fma_f32 v13, v11, v13, -v5
	v_fma_f32 v5, -v12, v10, v27
	s_delay_alu instid0(VALU_DEP_2)
	v_fma_f32 v10, -v12, v10, v13
	global_load_b64 v[11:12], v[20:21], off offset:10000
	ds_store_b64 v84, v[4:5]
	ds_store_b64 v6, v[9:10] offset:27000
	ds_load_b64 v[4:5], v81
	ds_load_b64 v[9:10], v6 offset:26000
	s_wait_dscnt 0x0
	v_dual_sub_f32 v13, v4, v9 :: v_dual_add_f32 v26, v5, v10
	v_sub_f32_e32 v5, v5, v10
	v_add_f32_e32 v9, v4, v9
	s_delay_alu instid0(VALU_DEP_3) | instskip(SKIP_1) | instid1(VALU_DEP_1)
	v_dual_mul_f32 v10, 0.5, v13 :: v_dual_mul_f32 v13, 0.5, v26
	s_wait_loadcnt 0x6
	v_mul_f32_e32 v26, v15, v10
	s_delay_alu instid0(VALU_DEP_1) | instskip(SKIP_2) | instid1(VALU_DEP_3)
	v_fma_f32 v4, 0.5, v9, v26
	v_fma_f32 v9, v9, 0.5, -v26
	v_add_nc_u32_e32 v26, v80, v8
	v_fmac_f32_e32 v4, v14, v13
	v_mul_f32_e32 v5, 0.5, v5
	s_delay_alu instid0(VALU_DEP_4) | instskip(NEXT) | instid1(VALU_DEP_2)
	v_fma_f32 v9, -v14, v13, v9
	v_fma_f32 v27, v13, v15, v5
	v_fma_f32 v15, v13, v15, -v5
	s_delay_alu instid0(VALU_DEP_2) | instskip(NEXT) | instid1(VALU_DEP_2)
	v_fma_f32 v5, -v14, v10, v27
	v_fma_f32 v10, -v14, v10, v15
	global_load_b64 v[13:14], v[20:21], off offset:11000
	ds_store_b64 v81, v[4:5]
	ds_store_b64 v6, v[9:10] offset:26000
	ds_load_b64 v[4:5], v26
	ds_load_b64 v[8:9], v6 offset:25000
	s_wait_dscnt 0x0
	v_dual_sub_f32 v10, v4, v8 :: v_dual_add_f32 v15, v5, v9
	v_dual_add_f32 v8, v4, v8 :: v_dual_sub_f32 v5, v5, v9
	s_delay_alu instid0(VALU_DEP_2) | instskip(SKIP_1) | instid1(VALU_DEP_1)
	v_dual_mul_f32 v9, 0.5, v10 :: v_dual_mul_f32 v10, 0.5, v15
	s_wait_loadcnt 0x6
	v_mul_f32_e32 v15, v17, v9
	s_delay_alu instid0(VALU_DEP_1) | instskip(SKIP_1) | instid1(VALU_DEP_2)
	v_fma_f32 v4, 0.5, v8, v15
	v_fma_f32 v8, v8, 0.5, -v15
	v_dual_fmac_f32 v4, v16, v10 :: v_dual_mul_f32 v5, 0.5, v5
	s_delay_alu instid0(VALU_DEP_2) | instskip(NEXT) | instid1(VALU_DEP_2)
	v_fma_f32 v8, -v16, v10, v8
	v_fma_f32 v27, v10, v17, v5
	v_fma_f32 v17, v10, v17, -v5
	s_delay_alu instid0(VALU_DEP_2) | instskip(NEXT) | instid1(VALU_DEP_2)
	v_fma_f32 v5, -v16, v9, v27
	v_fma_f32 v9, -v16, v9, v17
	v_add_nc_u32_e32 v17, v79, v7
	global_load_b64 v[15:16], v[20:21], off offset:12000
	ds_store_b64 v26, v[4:5]
	ds_store_b64 v6, v[8:9] offset:25000
	ds_load_b64 v[4:5], v17
	ds_load_b64 v[7:8], v6 offset:24000
	s_wait_dscnt 0x0
	v_dual_sub_f32 v9, v4, v7 :: v_dual_add_f32 v10, v5, v8
	v_sub_f32_e32 v5, v5, v8
	s_delay_alu instid0(VALU_DEP_2) | instskip(SKIP_1) | instid1(VALU_DEP_1)
	v_dual_add_f32 v7, v4, v7 :: v_dual_mul_f32 v8, 0.5, v9
	s_wait_loadcnt 0x6
	v_dual_mul_f32 v9, 0.5, v10 :: v_dual_mul_f32 v10, v19, v8
	s_delay_alu instid0(VALU_DEP_1) | instskip(SKIP_1) | instid1(VALU_DEP_2)
	v_fma_f32 v4, 0.5, v7, v10
	v_fma_f32 v7, v7, 0.5, -v10
	v_fmac_f32_e32 v4, v18, v9
	v_mul_f32_e32 v5, 0.5, v5
	s_delay_alu instid0(VALU_DEP_3) | instskip(NEXT) | instid1(VALU_DEP_2)
	v_fma_f32 v7, -v18, v9, v7
	v_fma_f32 v26, v9, v19, v5
	v_fma_f32 v19, v9, v19, -v5
	global_load_b64 v[9:10], v[20:21], off offset:13000
	v_fma_f32 v5, -v18, v8, v26
	v_fma_f32 v8, -v18, v8, v19
	ds_store_b64 v17, v[4:5]
	ds_store_b64 v6, v[7:8] offset:24000
	ds_load_b64 v[4:5], v78 offset:7000
	ds_load_b64 v[7:8], v6 offset:23000
	s_wait_dscnt 0x0
	v_dual_sub_f32 v17, v4, v7 :: v_dual_add_f32 v18, v5, v8
	v_sub_f32_e32 v5, v5, v8
	s_delay_alu instid0(VALU_DEP_2) | instskip(NEXT) | instid1(VALU_DEP_3)
	v_dual_add_f32 v7, v4, v7 :: v_dual_mul_f32 v8, 0.5, v17
	v_mul_f32_e32 v17, 0.5, v18
	s_wait_loadcnt 0x6
	s_delay_alu instid0(VALU_DEP_2) | instskip(NEXT) | instid1(VALU_DEP_1)
	v_dual_mul_f32 v5, 0.5, v5 :: v_dual_mul_f32 v18, v25, v8
	v_fma_f32 v19, v17, v25, v5
	v_fma_f32 v25, v17, v25, -v5
	s_delay_alu instid0(VALU_DEP_3) | instskip(SKIP_1) | instid1(VALU_DEP_4)
	v_fma_f32 v4, 0.5, v7, v18
	v_fma_f32 v7, v7, 0.5, -v18
	v_fma_f32 v5, -v24, v8, v19
	s_delay_alu instid0(VALU_DEP_4) | instskip(NEXT) | instid1(VALU_DEP_4)
	v_fma_f32 v8, -v24, v8, v25
	v_fmac_f32_e32 v4, v24, v17
	s_delay_alu instid0(VALU_DEP_4)
	v_fma_f32 v7, -v24, v17, v7
	global_load_b64 v[17:18], v[20:21], off offset:14000
	ds_store_b64 v78, v[4:5] offset:7000
	ds_store_b64 v6, v[7:8] offset:23000
	ds_load_b64 v[4:5], v78 offset:8000
	ds_load_b64 v[7:8], v6 offset:22000
	s_wait_dscnt 0x0
	v_dual_sub_f32 v19, v4, v7 :: v_dual_add_f32 v20, v5, v8
	v_sub_f32_e32 v5, v5, v8
	v_add_f32_e32 v7, v4, v7
	s_delay_alu instid0(VALU_DEP_3) | instskip(SKIP_1) | instid1(VALU_DEP_1)
	v_dual_mul_f32 v8, 0.5, v19 :: v_dual_mul_f32 v19, 0.5, v20
	s_wait_loadcnt 0x6
	v_dual_mul_f32 v5, 0.5, v5 :: v_dual_mul_f32 v20, v23, v8
	s_delay_alu instid0(VALU_DEP_1) | instskip(SKIP_1) | instid1(VALU_DEP_3)
	v_fma_f32 v21, v19, v23, v5
	v_fma_f32 v23, v19, v23, -v5
	v_fma_f32 v4, 0.5, v7, v20
	v_fma_f32 v7, v7, 0.5, -v20
	s_delay_alu instid0(VALU_DEP_4) | instskip(NEXT) | instid1(VALU_DEP_4)
	v_fma_f32 v5, -v22, v8, v21
	v_fma_f32 v8, -v22, v8, v23
	s_delay_alu instid0(VALU_DEP_4) | instskip(NEXT) | instid1(VALU_DEP_4)
	v_fmac_f32_e32 v4, v22, v19
	v_fma_f32 v7, -v22, v19, v7
	ds_store_b64 v78, v[4:5] offset:8000
	ds_store_b64 v6, v[7:8] offset:22000
	ds_load_b64 v[4:5], v109
	ds_load_b64 v[7:8], v6 offset:21000
	s_wait_dscnt 0x0
	v_dual_sub_f32 v19, v4, v7 :: v_dual_add_f32 v20, v5, v8
	v_dual_sub_f32 v5, v5, v8 :: v_dual_add_f32 v4, v4, v7
	s_delay_alu instid0(VALU_DEP_2) | instskip(NEXT) | instid1(VALU_DEP_2)
	v_dual_mul_f32 v8, 0.5, v19 :: v_dual_mul_f32 v19, 0.5, v20
	v_mul_f32_e32 v5, 0.5, v5
	s_wait_loadcnt 0x5
	s_delay_alu instid0(VALU_DEP_2) | instskip(NEXT) | instid1(VALU_DEP_2)
	v_mul_f32_e32 v7, v3, v8
	v_fma_f32 v20, v19, v3, v5
	v_fma_f32 v5, v19, v3, -v5
	s_delay_alu instid0(VALU_DEP_3) | instskip(SKIP_1) | instid1(VALU_DEP_4)
	v_fma_f32 v3, 0.5, v4, v7
	v_fma_f32 v7, v4, 0.5, -v7
	v_fma_f32 v4, -v2, v8, v20
	s_delay_alu instid0(VALU_DEP_4) | instskip(NEXT) | instid1(VALU_DEP_4)
	v_fma_f32 v8, -v2, v8, v5
	v_fmac_f32_e32 v3, v2, v19
	s_delay_alu instid0(VALU_DEP_4)
	v_fma_f32 v7, -v2, v19, v7
	ds_store_b64 v109, v[3:4]
	ds_store_b64 v6, v[7:8] offset:21000
	ds_load_b64 v[2:3], v78 offset:10000
	ds_load_b64 v[4:5], v6 offset:20000
	s_wait_dscnt 0x0
	v_dual_sub_f32 v7, v2, v4 :: v_dual_add_f32 v8, v3, v5
	v_dual_sub_f32 v3, v3, v5 :: v_dual_add_f32 v4, v2, v4
	s_delay_alu instid0(VALU_DEP_2) | instskip(NEXT) | instid1(VALU_DEP_3)
	v_mul_f32_e32 v5, 0.5, v7
	v_mul_f32_e32 v7, 0.5, v8
	s_wait_loadcnt 0x4
	s_delay_alu instid0(VALU_DEP_2) | instskip(NEXT) | instid1(VALU_DEP_1)
	v_dual_mul_f32 v3, 0.5, v3 :: v_dual_mul_f32 v8, v12, v5
	v_fma_f32 v19, v7, v12, v3
	v_fma_f32 v12, v7, v12, -v3
	s_delay_alu instid0(VALU_DEP_3) | instskip(SKIP_1) | instid1(VALU_DEP_4)
	v_fma_f32 v2, 0.5, v4, v8
	v_fma_f32 v4, v4, 0.5, -v8
	v_fma_f32 v3, -v11, v5, v19
	s_delay_alu instid0(VALU_DEP_4) | instskip(NEXT) | instid1(VALU_DEP_4)
	v_fma_f32 v5, -v11, v5, v12
	v_fmac_f32_e32 v2, v11, v7
	s_delay_alu instid0(VALU_DEP_4)
	v_fma_f32 v4, -v11, v7, v4
	ds_store_b64 v78, v[2:3] offset:10000
	ds_store_b64 v6, v[4:5] offset:20000
	ds_load_b64 v[2:3], v78 offset:11000
	ds_load_b64 v[4:5], v6 offset:19000
	s_wait_dscnt 0x0
	v_dual_sub_f32 v7, v2, v4 :: v_dual_add_f32 v8, v3, v5
	v_dual_sub_f32 v3, v3, v5 :: v_dual_add_f32 v4, v2, v4
	s_delay_alu instid0(VALU_DEP_2) | instskip(NEXT) | instid1(VALU_DEP_3)
	v_mul_f32_e32 v5, 0.5, v7
	v_mul_f32_e32 v7, 0.5, v8
	s_wait_loadcnt 0x3
	s_delay_alu instid0(VALU_DEP_2) | instskip(NEXT) | instid1(VALU_DEP_1)
	v_dual_mul_f32 v3, 0.5, v3 :: v_dual_mul_f32 v8, v14, v5
	v_fma_f32 v11, v7, v14, v3
	v_fma_f32 v12, v7, v14, -v3
	s_delay_alu instid0(VALU_DEP_3) | instskip(SKIP_1) | instid1(VALU_DEP_4)
	v_fma_f32 v2, 0.5, v4, v8
	v_fma_f32 v4, v4, 0.5, -v8
	v_fma_f32 v3, -v13, v5, v11
	s_delay_alu instid0(VALU_DEP_4) | instskip(NEXT) | instid1(VALU_DEP_4)
	v_fma_f32 v5, -v13, v5, v12
	v_fmac_f32_e32 v2, v13, v7
	s_delay_alu instid0(VALU_DEP_4)
	v_fma_f32 v4, -v13, v7, v4
	ds_store_b64 v78, v[2:3] offset:11000
	;; [unrolled: 24-line block ×5, first 2 shown]
	ds_store_b64 v6, v[4:5] offset:16000
	global_wb scope:SCOPE_SE
	s_wait_dscnt 0x0
	s_barrier_signal -1
	s_barrier_wait -1
	global_inv scope:SCOPE_SE
	s_and_saveexec_b32 s0, vcc_lo
	s_cbranch_execz .LBB0_20
; %bb.18:
	v_add_nc_u32_e32 v2, 0x400, v78
	v_add_nc_u32_e32 v12, 0xc00, v78
	;; [unrolled: 1-line block ×4, first 2 shown]
	ds_load_2addr_b64 v[4:7], v78 offset1:125
	ds_load_2addr_b64 v[8:11], v2 offset0:122 offset1:247
	v_add_nc_u32_e32 v24, 0x2400, v78
	v_add_nc_u32_e32 v28, 0x2c00, v78
	ds_load_2addr_b64 v[12:15], v12 offset0:116 offset1:241
	ds_load_2addr_b64 v[16:19], v16 offset0:110 offset1:235
	;; [unrolled: 1-line block ×5, first 2 shown]
	v_add_co_u32 v2, vcc_lo, s8, v54
	s_wait_alu 0xfffd
	v_add_co_ci_u32_e32 v3, vcc_lo, s9, v55, vcc_lo
	v_add_nc_u32_e32 v32, 0x3400, v78
	s_delay_alu instid0(VALU_DEP_3) | instskip(SKIP_1) | instid1(VALU_DEP_3)
	v_add_co_u32 v0, vcc_lo, v2, v0
	s_wait_alu 0xfffd
	v_add_co_ci_u32_e32 v1, vcc_lo, v3, v1, vcc_lo
	v_add_nc_u32_e32 v44, 0x5c00, v78
	v_add_nc_u32_e32 v33, 0x4400, v78
	;; [unrolled: 1-line block ×6, first 2 shown]
	v_cmp_eq_u32_e32 vcc_lo, 0x7c, v52
	s_wait_dscnt 0x6
	s_clause 0x1
	global_store_b64 v[0:1], v[4:5], off
	global_store_b64 v[0:1], v[6:7], off offset:1000
	s_wait_dscnt 0x5
	s_clause 0x1
	global_store_b64 v[0:1], v[8:9], off offset:2000
	global_store_b64 v[0:1], v[10:11], off offset:3000
	v_add_nc_u32_e32 v8, 0x3c00, v78
	ds_load_2addr_b64 v[4:7], v32 offset0:86 offset1:211
	ds_load_2addr_b64 v[8:11], v8 offset0:80 offset1:205
	;; [unrolled: 1-line block ×5, first 2 shown]
	s_wait_dscnt 0x9
	s_clause 0x1
	global_store_b64 v[0:1], v[12:13], off offset:4000
	global_store_b64 v[0:1], v[14:15], off offset:5000
	s_wait_dscnt 0x8
	s_clause 0x1
	global_store_b64 v[0:1], v[16:17], off offset:6000
	global_store_b64 v[0:1], v[18:19], off offset:7000
	ds_load_2addr_b64 v[12:15], v44 offset0:56 offset1:181
	ds_load_2addr_b64 v[16:19], v45 offset0:50 offset1:175
	;; [unrolled: 1-line block ×3, first 2 shown]
	s_wait_dscnt 0xa
	s_clause 0x1
	global_store_b64 v[0:1], v[20:21], off offset:8000
	global_store_b64 v[0:1], v[22:23], off offset:9000
	s_wait_dscnt 0x9
	s_clause 0x1
	global_store_b64 v[0:1], v[24:25], off offset:10000
	global_store_b64 v[0:1], v[26:27], off offset:11000
	;; [unrolled: 4-line block ×11, first 2 shown]
	s_and_b32 exec_lo, exec_lo, vcc_lo
	s_cbranch_execz .LBB0_20
; %bb.19:
	v_mov_b32_e32 v0, 0
	ds_load_b64 v[0:1], v0 offset:30000
	s_wait_dscnt 0x0
	global_store_b64 v[2:3], v[0:1], off offset:30000
.LBB0_20:
	s_nop 0
	s_sendmsg sendmsg(MSG_DEALLOC_VGPRS)
	s_endpgm
	.section	.rodata,"a",@progbits
	.p2align	6, 0x0
	.amdhsa_kernel fft_rtc_back_len3750_factors_3_5_5_10_5_wgs_125_tpt_125_halfLds_sp_ip_CI_unitstride_sbrr_R2C_dirReg
		.amdhsa_group_segment_fixed_size 0
		.amdhsa_private_segment_fixed_size 0
		.amdhsa_kernarg_size 88
		.amdhsa_user_sgpr_count 2
		.amdhsa_user_sgpr_dispatch_ptr 0
		.amdhsa_user_sgpr_queue_ptr 0
		.amdhsa_user_sgpr_kernarg_segment_ptr 1
		.amdhsa_user_sgpr_dispatch_id 0
		.amdhsa_user_sgpr_private_segment_size 0
		.amdhsa_wavefront_size32 1
		.amdhsa_uses_dynamic_stack 0
		.amdhsa_enable_private_segment 0
		.amdhsa_system_sgpr_workgroup_id_x 1
		.amdhsa_system_sgpr_workgroup_id_y 0
		.amdhsa_system_sgpr_workgroup_id_z 0
		.amdhsa_system_sgpr_workgroup_info 0
		.amdhsa_system_vgpr_workitem_id 0
		.amdhsa_next_free_vgpr 144
		.amdhsa_next_free_sgpr 32
		.amdhsa_reserve_vcc 1
		.amdhsa_float_round_mode_32 0
		.amdhsa_float_round_mode_16_64 0
		.amdhsa_float_denorm_mode_32 3
		.amdhsa_float_denorm_mode_16_64 3
		.amdhsa_fp16_overflow 0
		.amdhsa_workgroup_processor_mode 1
		.amdhsa_memory_ordered 1
		.amdhsa_forward_progress 0
		.amdhsa_round_robin_scheduling 0
		.amdhsa_exception_fp_ieee_invalid_op 0
		.amdhsa_exception_fp_denorm_src 0
		.amdhsa_exception_fp_ieee_div_zero 0
		.amdhsa_exception_fp_ieee_overflow 0
		.amdhsa_exception_fp_ieee_underflow 0
		.amdhsa_exception_fp_ieee_inexact 0
		.amdhsa_exception_int_div_zero 0
	.end_amdhsa_kernel
	.text
.Lfunc_end0:
	.size	fft_rtc_back_len3750_factors_3_5_5_10_5_wgs_125_tpt_125_halfLds_sp_ip_CI_unitstride_sbrr_R2C_dirReg, .Lfunc_end0-fft_rtc_back_len3750_factors_3_5_5_10_5_wgs_125_tpt_125_halfLds_sp_ip_CI_unitstride_sbrr_R2C_dirReg
                                        ; -- End function
	.section	.AMDGPU.csdata,"",@progbits
; Kernel info:
; codeLenInByte = 22812
; NumSgprs: 34
; NumVgprs: 144
; ScratchSize: 0
; MemoryBound: 0
; FloatMode: 240
; IeeeMode: 1
; LDSByteSize: 0 bytes/workgroup (compile time only)
; SGPRBlocks: 4
; VGPRBlocks: 17
; NumSGPRsForWavesPerEU: 34
; NumVGPRsForWavesPerEU: 144
; Occupancy: 10
; WaveLimiterHint : 1
; COMPUTE_PGM_RSRC2:SCRATCH_EN: 0
; COMPUTE_PGM_RSRC2:USER_SGPR: 2
; COMPUTE_PGM_RSRC2:TRAP_HANDLER: 0
; COMPUTE_PGM_RSRC2:TGID_X_EN: 1
; COMPUTE_PGM_RSRC2:TGID_Y_EN: 0
; COMPUTE_PGM_RSRC2:TGID_Z_EN: 0
; COMPUTE_PGM_RSRC2:TIDIG_COMP_CNT: 0
	.text
	.p2alignl 7, 3214868480
	.fill 96, 4, 3214868480
	.type	__hip_cuid_a332152e39025cbc,@object ; @__hip_cuid_a332152e39025cbc
	.section	.bss,"aw",@nobits
	.globl	__hip_cuid_a332152e39025cbc
__hip_cuid_a332152e39025cbc:
	.byte	0                               ; 0x0
	.size	__hip_cuid_a332152e39025cbc, 1

	.ident	"AMD clang version 19.0.0git (https://github.com/RadeonOpenCompute/llvm-project roc-6.4.0 25133 c7fe45cf4b819c5991fe208aaa96edf142730f1d)"
	.section	".note.GNU-stack","",@progbits
	.addrsig
	.addrsig_sym __hip_cuid_a332152e39025cbc
	.amdgpu_metadata
---
amdhsa.kernels:
  - .args:
      - .actual_access:  read_only
        .address_space:  global
        .offset:         0
        .size:           8
        .value_kind:     global_buffer
      - .offset:         8
        .size:           8
        .value_kind:     by_value
      - .actual_access:  read_only
        .address_space:  global
        .offset:         16
        .size:           8
        .value_kind:     global_buffer
      - .actual_access:  read_only
        .address_space:  global
        .offset:         24
        .size:           8
        .value_kind:     global_buffer
      - .offset:         32
        .size:           8
        .value_kind:     by_value
      - .actual_access:  read_only
        .address_space:  global
        .offset:         40
        .size:           8
        .value_kind:     global_buffer
      - .actual_access:  read_only
        .address_space:  global
        .offset:         48
        .size:           8
        .value_kind:     global_buffer
      - .offset:         56
        .size:           4
        .value_kind:     by_value
      - .actual_access:  read_only
        .address_space:  global
        .offset:         64
        .size:           8
        .value_kind:     global_buffer
      - .actual_access:  read_only
        .address_space:  global
        .offset:         72
        .size:           8
        .value_kind:     global_buffer
      - .address_space:  global
        .offset:         80
        .size:           8
        .value_kind:     global_buffer
    .group_segment_fixed_size: 0
    .kernarg_segment_align: 8
    .kernarg_segment_size: 88
    .language:       OpenCL C
    .language_version:
      - 2
      - 0
    .max_flat_workgroup_size: 125
    .name:           fft_rtc_back_len3750_factors_3_5_5_10_5_wgs_125_tpt_125_halfLds_sp_ip_CI_unitstride_sbrr_R2C_dirReg
    .private_segment_fixed_size: 0
    .sgpr_count:     34
    .sgpr_spill_count: 0
    .symbol:         fft_rtc_back_len3750_factors_3_5_5_10_5_wgs_125_tpt_125_halfLds_sp_ip_CI_unitstride_sbrr_R2C_dirReg.kd
    .uniform_work_group_size: 1
    .uses_dynamic_stack: false
    .vgpr_count:     144
    .vgpr_spill_count: 0
    .wavefront_size: 32
    .workgroup_processor_mode: 1
amdhsa.target:   amdgcn-amd-amdhsa--gfx1201
amdhsa.version:
  - 1
  - 2
...

	.end_amdgpu_metadata
